;; amdgpu-corpus repo=ROCm/rocFFT kind=compiled arch=gfx1201 opt=O3
	.text
	.amdgcn_target "amdgcn-amd-amdhsa--gfx1201"
	.amdhsa_code_object_version 6
	.protected	fft_rtc_back_len1188_factors_6_11_2_3_3_wgs_198_tpt_66_halfLds_dp_ip_CI_unitstride_sbrr_dirReg ; -- Begin function fft_rtc_back_len1188_factors_6_11_2_3_3_wgs_198_tpt_66_halfLds_dp_ip_CI_unitstride_sbrr_dirReg
	.globl	fft_rtc_back_len1188_factors_6_11_2_3_3_wgs_198_tpt_66_halfLds_dp_ip_CI_unitstride_sbrr_dirReg
	.p2align	8
	.type	fft_rtc_back_len1188_factors_6_11_2_3_3_wgs_198_tpt_66_halfLds_dp_ip_CI_unitstride_sbrr_dirReg,@function
fft_rtc_back_len1188_factors_6_11_2_3_3_wgs_198_tpt_66_halfLds_dp_ip_CI_unitstride_sbrr_dirReg: ; @fft_rtc_back_len1188_factors_6_11_2_3_3_wgs_198_tpt_66_halfLds_dp_ip_CI_unitstride_sbrr_dirReg
; %bb.0:
	s_load_b128 s[4:7], s[0:1], 0x0
	v_mul_u32_u24_e32 v1, 0x3e1, v0
	s_clause 0x1
	s_load_b64 s[8:9], s[0:1], 0x50
	s_load_b64 s[10:11], s[0:1], 0x18
	v_mov_b32_e32 v5, 0
	v_lshrrev_b32_e32 v1, 16, v1
	s_delay_alu instid0(VALU_DEP_1) | instskip(SKIP_3) | instid1(VALU_DEP_1)
	v_mad_co_u64_u32 v[1:2], null, ttmp9, 3, v[1:2]
	v_mov_b32_e32 v3, 0
	v_mov_b32_e32 v4, 0
	;; [unrolled: 1-line block ×4, first 2 shown]
	s_wait_kmcnt 0x0
	v_cmp_lt_u64_e64 s2, s[6:7], 2
	v_mov_b32_e32 v9, v1
	s_delay_alu instid0(VALU_DEP_2)
	s_and_b32 vcc_lo, exec_lo, s2
	s_cbranch_vccnz .LBB0_8
; %bb.1:
	s_load_b64 s[2:3], s[0:1], 0x10
	v_dual_mov_b32 v3, 0 :: v_dual_mov_b32 v8, v2
	v_dual_mov_b32 v4, 0 :: v_dual_mov_b32 v7, v1
	s_add_nc_u64 s[12:13], s[10:11], 8
	s_mov_b64 s[14:15], 1
	s_wait_kmcnt 0x0
	s_add_nc_u64 s[16:17], s[2:3], 8
	s_mov_b32 s3, 0
.LBB0_2:                                ; =>This Inner Loop Header: Depth=1
	s_load_b64 s[18:19], s[16:17], 0x0
                                        ; implicit-def: $vgpr9_vgpr10
	s_mov_b32 s2, exec_lo
	s_wait_kmcnt 0x0
	v_or_b32_e32 v6, s19, v8
	s_delay_alu instid0(VALU_DEP_1)
	v_cmpx_ne_u64_e32 0, v[5:6]
	s_wait_alu 0xfffe
	s_xor_b32 s20, exec_lo, s2
	s_cbranch_execz .LBB0_4
; %bb.3:                                ;   in Loop: Header=BB0_2 Depth=1
	s_cvt_f32_u32 s2, s18
	s_cvt_f32_u32 s21, s19
	s_sub_nc_u64 s[24:25], 0, s[18:19]
	s_wait_alu 0xfffe
	s_delay_alu instid0(SALU_CYCLE_1) | instskip(SKIP_1) | instid1(SALU_CYCLE_2)
	s_fmamk_f32 s2, s21, 0x4f800000, s2
	s_wait_alu 0xfffe
	v_s_rcp_f32 s2, s2
	s_delay_alu instid0(TRANS32_DEP_1) | instskip(SKIP_1) | instid1(SALU_CYCLE_2)
	s_mul_f32 s2, s2, 0x5f7ffffc
	s_wait_alu 0xfffe
	s_mul_f32 s21, s2, 0x2f800000
	s_wait_alu 0xfffe
	s_delay_alu instid0(SALU_CYCLE_2) | instskip(SKIP_1) | instid1(SALU_CYCLE_2)
	s_trunc_f32 s21, s21
	s_wait_alu 0xfffe
	s_fmamk_f32 s2, s21, 0xcf800000, s2
	s_cvt_u32_f32 s23, s21
	s_wait_alu 0xfffe
	s_delay_alu instid0(SALU_CYCLE_1) | instskip(SKIP_1) | instid1(SALU_CYCLE_2)
	s_cvt_u32_f32 s22, s2
	s_wait_alu 0xfffe
	s_mul_u64 s[26:27], s[24:25], s[22:23]
	s_wait_alu 0xfffe
	s_mul_hi_u32 s29, s22, s27
	s_mul_i32 s28, s22, s27
	s_mul_hi_u32 s2, s22, s26
	s_mul_i32 s30, s23, s26
	s_wait_alu 0xfffe
	s_add_nc_u64 s[28:29], s[2:3], s[28:29]
	s_mul_hi_u32 s21, s23, s26
	s_mul_hi_u32 s31, s23, s27
	s_add_co_u32 s2, s28, s30
	s_wait_alu 0xfffe
	s_add_co_ci_u32 s2, s29, s21
	s_mul_i32 s26, s23, s27
	s_add_co_ci_u32 s27, s31, 0
	s_wait_alu 0xfffe
	s_add_nc_u64 s[26:27], s[2:3], s[26:27]
	s_wait_alu 0xfffe
	v_add_co_u32 v2, s2, s22, s26
	s_delay_alu instid0(VALU_DEP_1) | instskip(SKIP_1) | instid1(VALU_DEP_1)
	s_cmp_lg_u32 s2, 0
	s_add_co_ci_u32 s23, s23, s27
	v_readfirstlane_b32 s22, v2
	s_wait_alu 0xfffe
	s_delay_alu instid0(VALU_DEP_1)
	s_mul_u64 s[24:25], s[24:25], s[22:23]
	s_wait_alu 0xfffe
	s_mul_hi_u32 s27, s22, s25
	s_mul_i32 s26, s22, s25
	s_mul_hi_u32 s2, s22, s24
	s_mul_i32 s28, s23, s24
	s_wait_alu 0xfffe
	s_add_nc_u64 s[26:27], s[2:3], s[26:27]
	s_mul_hi_u32 s21, s23, s24
	s_mul_hi_u32 s22, s23, s25
	s_wait_alu 0xfffe
	s_add_co_u32 s2, s26, s28
	s_add_co_ci_u32 s2, s27, s21
	s_mul_i32 s24, s23, s25
	s_add_co_ci_u32 s25, s22, 0
	s_wait_alu 0xfffe
	s_add_nc_u64 s[24:25], s[2:3], s[24:25]
	s_wait_alu 0xfffe
	v_add_co_u32 v2, s2, v2, s24
	s_delay_alu instid0(VALU_DEP_1) | instskip(SKIP_1) | instid1(VALU_DEP_1)
	s_cmp_lg_u32 s2, 0
	s_add_co_ci_u32 s2, s23, s25
	v_mul_hi_u32 v6, v7, v2
	s_wait_alu 0xfffe
	v_mad_co_u64_u32 v[9:10], null, v7, s2, 0
	v_mad_co_u64_u32 v[11:12], null, v8, v2, 0
	;; [unrolled: 1-line block ×3, first 2 shown]
	s_delay_alu instid0(VALU_DEP_3) | instskip(SKIP_1) | instid1(VALU_DEP_4)
	v_add_co_u32 v2, vcc_lo, v6, v9
	s_wait_alu 0xfffd
	v_add_co_ci_u32_e32 v6, vcc_lo, 0, v10, vcc_lo
	s_delay_alu instid0(VALU_DEP_2) | instskip(SKIP_1) | instid1(VALU_DEP_2)
	v_add_co_u32 v2, vcc_lo, v2, v11
	s_wait_alu 0xfffd
	v_add_co_ci_u32_e32 v2, vcc_lo, v6, v12, vcc_lo
	s_wait_alu 0xfffd
	v_add_co_ci_u32_e32 v6, vcc_lo, 0, v14, vcc_lo
	s_delay_alu instid0(VALU_DEP_2) | instskip(SKIP_1) | instid1(VALU_DEP_2)
	v_add_co_u32 v2, vcc_lo, v2, v13
	s_wait_alu 0xfffd
	v_add_co_ci_u32_e32 v6, vcc_lo, 0, v6, vcc_lo
	s_delay_alu instid0(VALU_DEP_2) | instskip(SKIP_1) | instid1(VALU_DEP_3)
	v_mul_lo_u32 v11, s19, v2
	v_mad_co_u64_u32 v[9:10], null, s18, v2, 0
	v_mul_lo_u32 v12, s18, v6
	s_delay_alu instid0(VALU_DEP_2) | instskip(NEXT) | instid1(VALU_DEP_2)
	v_sub_co_u32 v9, vcc_lo, v7, v9
	v_add3_u32 v10, v10, v12, v11
	s_delay_alu instid0(VALU_DEP_1) | instskip(SKIP_1) | instid1(VALU_DEP_1)
	v_sub_nc_u32_e32 v11, v8, v10
	s_wait_alu 0xfffd
	v_subrev_co_ci_u32_e64 v11, s2, s19, v11, vcc_lo
	v_add_co_u32 v12, s2, v2, 2
	s_wait_alu 0xf1ff
	v_add_co_ci_u32_e64 v13, s2, 0, v6, s2
	v_sub_co_u32 v14, s2, v9, s18
	v_sub_co_ci_u32_e32 v10, vcc_lo, v8, v10, vcc_lo
	s_wait_alu 0xf1ff
	v_subrev_co_ci_u32_e64 v11, s2, 0, v11, s2
	s_delay_alu instid0(VALU_DEP_3) | instskip(NEXT) | instid1(VALU_DEP_3)
	v_cmp_le_u32_e32 vcc_lo, s18, v14
	v_cmp_eq_u32_e64 s2, s19, v10
	s_wait_alu 0xfffd
	v_cndmask_b32_e64 v14, 0, -1, vcc_lo
	v_cmp_le_u32_e32 vcc_lo, s19, v11
	s_wait_alu 0xfffd
	v_cndmask_b32_e64 v15, 0, -1, vcc_lo
	v_cmp_le_u32_e32 vcc_lo, s18, v9
	;; [unrolled: 3-line block ×3, first 2 shown]
	s_wait_alu 0xfffd
	v_cndmask_b32_e64 v16, 0, -1, vcc_lo
	v_cmp_eq_u32_e32 vcc_lo, s19, v11
	s_wait_alu 0xf1ff
	s_delay_alu instid0(VALU_DEP_2)
	v_cndmask_b32_e64 v9, v16, v9, s2
	s_wait_alu 0xfffd
	v_cndmask_b32_e32 v11, v15, v14, vcc_lo
	v_add_co_u32 v14, vcc_lo, v2, 1
	s_wait_alu 0xfffd
	v_add_co_ci_u32_e32 v15, vcc_lo, 0, v6, vcc_lo
	s_delay_alu instid0(VALU_DEP_3) | instskip(SKIP_1) | instid1(VALU_DEP_2)
	v_cmp_ne_u32_e32 vcc_lo, 0, v11
	s_wait_alu 0xfffd
	v_dual_cndmask_b32 v10, v15, v13 :: v_dual_cndmask_b32 v11, v14, v12
	v_cmp_ne_u32_e32 vcc_lo, 0, v9
	s_wait_alu 0xfffd
	s_delay_alu instid0(VALU_DEP_2) | instskip(NEXT) | instid1(VALU_DEP_3)
	v_cndmask_b32_e32 v10, v6, v10, vcc_lo
	v_cndmask_b32_e32 v9, v2, v11, vcc_lo
.LBB0_4:                                ;   in Loop: Header=BB0_2 Depth=1
	s_wait_alu 0xfffe
	s_and_not1_saveexec_b32 s2, s20
	s_cbranch_execz .LBB0_6
; %bb.5:                                ;   in Loop: Header=BB0_2 Depth=1
	v_cvt_f32_u32_e32 v2, s18
	s_sub_co_i32 s20, 0, s18
	s_delay_alu instid0(VALU_DEP_1) | instskip(NEXT) | instid1(TRANS32_DEP_1)
	v_rcp_iflag_f32_e32 v2, v2
	v_mul_f32_e32 v2, 0x4f7ffffe, v2
	s_delay_alu instid0(VALU_DEP_1) | instskip(SKIP_1) | instid1(VALU_DEP_1)
	v_cvt_u32_f32_e32 v2, v2
	s_wait_alu 0xfffe
	v_mul_lo_u32 v6, s20, v2
	s_delay_alu instid0(VALU_DEP_1) | instskip(NEXT) | instid1(VALU_DEP_1)
	v_mul_hi_u32 v6, v2, v6
	v_add_nc_u32_e32 v2, v2, v6
	s_delay_alu instid0(VALU_DEP_1) | instskip(NEXT) | instid1(VALU_DEP_1)
	v_mul_hi_u32 v2, v7, v2
	v_mul_lo_u32 v6, v2, s18
	v_add_nc_u32_e32 v9, 1, v2
	s_delay_alu instid0(VALU_DEP_2) | instskip(NEXT) | instid1(VALU_DEP_1)
	v_sub_nc_u32_e32 v6, v7, v6
	v_subrev_nc_u32_e32 v10, s18, v6
	v_cmp_le_u32_e32 vcc_lo, s18, v6
	s_wait_alu 0xfffd
	s_delay_alu instid0(VALU_DEP_2) | instskip(SKIP_2) | instid1(VALU_DEP_3)
	v_cndmask_b32_e32 v6, v6, v10, vcc_lo
	v_mov_b32_e32 v10, v5
	v_cndmask_b32_e32 v2, v2, v9, vcc_lo
	v_cmp_le_u32_e32 vcc_lo, s18, v6
	s_delay_alu instid0(VALU_DEP_2) | instskip(SKIP_1) | instid1(VALU_DEP_1)
	v_add_nc_u32_e32 v9, 1, v2
	s_wait_alu 0xfffd
	v_cndmask_b32_e32 v9, v2, v9, vcc_lo
.LBB0_6:                                ;   in Loop: Header=BB0_2 Depth=1
	s_wait_alu 0xfffe
	s_or_b32 exec_lo, exec_lo, s2
	s_load_b64 s[20:21], s[12:13], 0x0
	v_mul_lo_u32 v2, v10, s18
	v_mul_lo_u32 v6, v9, s19
	v_mad_co_u64_u32 v[11:12], null, v9, s18, 0
	s_add_nc_u64 s[14:15], s[14:15], 1
	s_add_nc_u64 s[12:13], s[12:13], 8
	s_wait_alu 0xfffe
	v_cmp_ge_u64_e64 s2, s[14:15], s[6:7]
	s_add_nc_u64 s[16:17], s[16:17], 8
	s_delay_alu instid0(VALU_DEP_2) | instskip(NEXT) | instid1(VALU_DEP_3)
	v_add3_u32 v2, v12, v6, v2
	v_sub_co_u32 v6, vcc_lo, v7, v11
	s_wait_alu 0xfffd
	s_delay_alu instid0(VALU_DEP_2) | instskip(SKIP_3) | instid1(VALU_DEP_2)
	v_sub_co_ci_u32_e32 v2, vcc_lo, v8, v2, vcc_lo
	s_and_b32 vcc_lo, exec_lo, s2
	s_wait_kmcnt 0x0
	v_mul_lo_u32 v7, s21, v6
	v_mul_lo_u32 v2, s20, v2
	v_mad_co_u64_u32 v[3:4], null, s20, v6, v[3:4]
	s_delay_alu instid0(VALU_DEP_1)
	v_add3_u32 v4, v7, v4, v2
	s_wait_alu 0xfffe
	s_cbranch_vccnz .LBB0_8
; %bb.7:                                ;   in Loop: Header=BB0_2 Depth=1
	v_dual_mov_b32 v7, v9 :: v_dual_mov_b32 v8, v10
	s_branch .LBB0_2
.LBB0_8:
	s_lshl_b64 s[2:3], s[6:7], 3
                                        ; implicit-def: $vgpr92_vgpr93
                                        ; implicit-def: $vgpr84_vgpr85
                                        ; implicit-def: $vgpr100_vgpr101
                                        ; implicit-def: $vgpr80_vgpr81
                                        ; implicit-def: $vgpr76_vgpr77
                                        ; implicit-def: $vgpr68_vgpr69
                                        ; implicit-def: $vgpr96_vgpr97
                                        ; implicit-def: $vgpr52_vgpr53
                                        ; implicit-def: $vgpr108_vgpr109
                                        ; implicit-def: $vgpr40_vgpr41
                                        ; implicit-def: $vgpr88_vgpr89
                                        ; implicit-def: $vgpr28_vgpr29
                                        ; implicit-def: $vgpr104_vgpr105
                                        ; implicit-def: $vgpr32_vgpr33
                                        ; implicit-def: $vgpr112_vgpr113
                                        ; implicit-def: $vgpr64_vgpr65
                                        ; implicit-def: $vgpr72_vgpr73
                                        ; implicit-def: $vgpr24_vgpr25
	s_wait_alu 0xfffe
	s_add_nc_u64 s[2:3], s[10:11], s[2:3]
	s_load_b64 s[2:3], s[2:3], 0x0
	s_load_b64 s[0:1], s[0:1], 0x20
	s_wait_kmcnt 0x0
	v_mul_lo_u32 v5, s2, v10
	v_mul_lo_u32 v6, s3, v9
	v_mad_co_u64_u32 v[2:3], null, s2, v9, v[3:4]
	v_mul_hi_u32 v4, 0x3e0f83f, v0
	v_cmp_gt_u64_e32 vcc_lo, s[0:1], v[9:10]
	s_delay_alu instid0(VALU_DEP_3) | instskip(NEXT) | instid1(VALU_DEP_3)
	v_add3_u32 v3, v6, v3, v5
	v_mul_u32_u24_e32 v4, 0x42, v4
	s_delay_alu instid0(VALU_DEP_2) | instskip(NEXT) | instid1(VALU_DEP_2)
	v_lshlrev_b64_e32 v[120:121], 4, v[2:3]
	v_sub_nc_u32_e32 v118, v0, v4
	s_and_saveexec_b32 s1, vcc_lo
; %bb.9:
	v_mov_b32_e32 v119, 0
	s_delay_alu instid0(VALU_DEP_3) | instskip(SKIP_2) | instid1(VALU_DEP_3)
	v_add_co_u32 v0, s0, s8, v120
	s_wait_alu 0xf1ff
	v_add_co_ci_u32_e64 v4, s0, s9, v121, s0
	v_lshlrev_b64_e32 v[2:3], 4, v[118:119]
	s_delay_alu instid0(VALU_DEP_1) | instskip(SKIP_1) | instid1(VALU_DEP_2)
	v_add_co_u32 v2, s0, v0, v2
	s_wait_alu 0xf1ff
	v_add_co_ci_u32_e64 v3, s0, v4, v3, s0
	s_clause 0x11
	global_load_b128 v[22:25], v[2:3], off
	global_load_b128 v[26:29], v[2:3], off offset:1056
	global_load_b128 v[62:65], v[2:3], off offset:6336
	;; [unrolled: 1-line block ×17, first 2 shown]
; %bb.10:
	s_wait_alu 0xfffe
	s_or_b32 exec_lo, exec_lo, s1
	s_wait_loadcnt 0x3
	v_add_f64_e32 v[2:3], v[104:105], v[112:113]
	s_wait_loadcnt 0x1
	v_add_f64_e32 v[4:5], v[96:97], v[108:109]
	;; [unrolled: 2-line block ×3, first 2 shown]
	v_add_f64_e32 v[8:9], v[102:103], v[110:111]
	v_add_f64_e64 v[10:11], v[110:111], -v[102:103]
	v_add_f64_e32 v[12:13], v[94:95], v[106:107]
	v_add_f64_e64 v[14:15], v[106:107], -v[94:95]
	;; [unrolled: 2-line block ×3, first 2 shown]
	s_mov_b32 s2, 0xe8584caa
	s_mov_b32 s3, 0xbfebb67a
	;; [unrolled: 1-line block ×3, first 2 shown]
	s_wait_alu 0xfffe
	s_mov_b32 s6, s2
	v_add_f64_e32 v[20:21], v[30:31], v[62:63]
	v_add_f64_e64 v[34:35], v[112:113], -v[104:105]
	v_add_f64_e32 v[36:37], v[50:51], v[38:39]
	v_add_f64_e32 v[42:43], v[82:83], v[78:79]
	v_add_f64_e64 v[44:45], v[108:109], -v[96:97]
	v_add_f64_e32 v[56:57], v[98:99], v[74:75]
	v_add_f64_e32 v[54:55], v[78:79], v[66:67]
	;; [unrolled: 1-line block ×3, first 2 shown]
	v_add_f64_e64 v[48:49], v[80:81], -v[84:85]
	v_mul_hi_u32 v0, 0xaaaaaaab, v1
	v_cmp_gt_u32_e64 s0, 42, v118
	s_delay_alu instid0(VALU_DEP_2) | instskip(NEXT) | instid1(VALU_DEP_1)
	v_lshrrev_b32_e32 v0, 1, v0
	v_lshl_add_u32 v0, v0, 1, v0
	v_fma_f64 v[2:3], v[2:3], -0.5, v[72:73]
	v_fma_f64 v[4:5], v[4:5], -0.5, v[88:89]
	;; [unrolled: 1-line block ×4, first 2 shown]
	v_sub_nc_u32_e32 v0, v1, v0
	v_lshlrev_b32_e32 v1, 3, v118
	s_delay_alu instid0(VALU_DEP_2) | instskip(SKIP_1) | instid1(VALU_DEP_2)
	v_mul_u32_u24_e32 v0, 0x4a4, v0
	v_fma_f64 v[20:21], v[20:21], -0.5, v[22:23]
	v_lshlrev_b32_e32 v136, 3, v0
	s_delay_alu instid0(VALU_DEP_4) | instskip(SKIP_3) | instid1(VALU_DEP_4)
	v_add_nc_u32_e32 v0, 0, v1
	v_add_f64_e32 v[56:57], v[90:91], v[56:57]
	v_add_f64_e32 v[54:55], v[82:83], v[54:55]
	;; [unrolled: 1-line block ×3, first 2 shown]
	v_add_nc_u32_e32 v134, v0, v136
	s_wait_alu 0xfffe
	v_fma_f64 v[126:127], v[10:11], s[6:7], v[2:3]
	v_fma_f64 v[130:131], v[10:11], s[2:3], v[2:3]
	v_fma_f64 v[2:3], v[12:13], -0.5, v[86:87]
	v_fma_f64 v[116:117], v[14:15], s[6:7], v[4:5]
	v_fma_f64 v[132:133], v[14:15], s[2:3], v[4:5]
	v_add_f64_e64 v[10:11], v[100:101], -v[92:93]
	v_fma_f64 v[4:5], v[16:17], -0.5, v[74:75]
	v_fma_f64 v[114:115], v[18:19], s[6:7], v[6:7]
	v_fma_f64 v[128:129], v[18:19], s[2:3], v[6:7]
	v_add_f64_e64 v[6:7], v[64:65], -v[32:33]
	v_add_f64_e32 v[12:13], v[62:63], v[22:23]
	v_add_f64_e32 v[14:15], v[110:111], v[70:71]
	;; [unrolled: 1-line block ×3, first 2 shown]
	v_fma_f64 v[22:23], v[36:37], -0.5, v[26:27]
	v_fma_f64 v[98:99], v[34:35], s[2:3], v[8:9]
	v_fma_f64 v[26:27], v[34:35], s[6:7], v[8:9]
	v_add_f64_e64 v[16:17], v[40:41], -v[52:53]
	v_fma_f64 v[36:37], v[42:43], -0.5, v[66:67]
	v_mul_f64_e32 v[8:9], s[2:3], v[126:127]
	v_mul_f64_e32 v[34:35], s[2:3], v[130:131]
	v_fma_f64 v[86:87], v[44:45], s[2:3], v[2:3]
	v_fma_f64 v[66:67], v[44:45], s[6:7], v[2:3]
	v_mul_f64_e32 v[2:3], s[2:3], v[116:117]
	v_mul_f64_e32 v[42:43], s[2:3], v[132:133]
	v_fma_f64 v[74:75], v[10:11], s[2:3], v[4:5]
	v_fma_f64 v[70:71], v[10:11], s[6:7], v[4:5]
	v_mul_f64_e32 v[4:5], s[2:3], v[114:115]
	v_mul_f64_e32 v[10:11], s[2:3], v[128:129]
	v_add_f64_e32 v[12:13], v[30:31], v[12:13]
	v_add_f64_e32 v[44:45], v[102:103], v[14:15]
	v_fma_f64 v[58:59], v[6:7], s[2:3], v[20:21]
	v_fma_f64 v[6:7], v[6:7], s[6:7], v[20:21]
	v_add_f64_e32 v[18:19], v[50:51], v[18:19]
	v_add_f64_e32 v[20:21], v[56:57], v[54:55]
	v_fma_f64 v[90:91], v[16:17], s[2:3], v[22:23]
	v_fma_f64 v[22:23], v[16:17], s[6:7], v[22:23]
	;; [unrolled: 1-line block ×4, first 2 shown]
	v_fma_f64 v[8:9], v[98:99], 0.5, v[8:9]
	v_fma_f64 v[60:61], v[26:27], -0.5, v[34:35]
	v_fma_f64 v[2:3], v[86:87], 0.5, v[2:3]
	v_fma_f64 v[94:95], v[66:67], -0.5, v[42:43]
	;; [unrolled: 2-line block ×3, first 2 shown]
	v_add_f64_e32 v[14:15], v[44:45], v[12:13]
	v_add_f64_e64 v[36:37], v[12:13], -v[44:45]
	v_add_f64_e64 v[12:13], v[54:55], -v[56:57]
	v_add_f64_e32 v[42:43], v[46:47], v[18:19]
	v_add_f64_e64 v[48:49], v[18:19], -v[46:47]
	v_mul_u32_u24_e32 v18, 6, v118
	v_add_nc_u32_e32 v19, 0, v136
	s_delay_alu instid0(VALU_DEP_1)
	v_add_nc_u32_e32 v135, v19, v1
	v_add_f64_e32 v[16:17], v[58:59], v[8:9]
	v_add_f64_e32 v[34:35], v[6:7], v[60:61]
	v_add_f64_e64 v[54:55], v[58:59], -v[8:9]
	v_add_f64_e64 v[56:57], v[6:7], -v[60:61]
	v_add_f64_e32 v[44:45], v[90:91], v[2:3]
	v_add_f64_e32 v[46:47], v[22:23], v[94:95]
	v_add_f64_e64 v[2:3], v[90:91], -v[2:3]
	v_add_f64_e64 v[4:5], v[22:23], -v[94:95]
	;; [unrolled: 4-line block ×3, first 2 shown]
	v_lshl_add_u32 v102, v18, 3, v19
	v_add_nc_u32_e32 v90, 0x800, v134
	v_add_nc_u32_e32 v91, 0x1000, v134
	;; [unrolled: 1-line block ×6, first 2 shown]
                                        ; implicit-def: $vgpr122_vgpr123
                                        ; implicit-def: $vgpr18_vgpr19
	ds_store_b128 v102, v[14:17]
	ds_store_b128 v102, v[34:37] offset:16
	ds_store_b128 v102, v[54:57] offset:32
	;; [unrolled: 1-line block ×8, first 2 shown]
	global_wb scope:SCOPE_SE
	s_wait_dscnt 0x0
	s_barrier_signal -1
	s_barrier_wait -1
	global_inv scope:SCOPE_SE
	ds_load_b64 v[124:125], v135
	ds_load_2addr_b64 v[54:57], v134 offset0:108 offset1:216
	ds_load_2addr_b64 v[42:45], v90 offset0:68 offset1:176
	ds_load_2addr_b64 v[34:37], v91 offset0:28 offset1:136
	ds_load_2addr_b64 v[46:49], v94 offset0:116 offset1:224
	ds_load_2addr_b64 v[58:61], v95 offset0:76 offset1:184
                                        ; implicit-def: $vgpr14_vgpr15
	s_and_saveexec_b32 s1, s0
	s_cbranch_execz .LBB0_12
; %bb.11:
	v_add_nc_u32_e32 v8, 0xc00, v134
	ds_load_2addr_b64 v[12:15], v94 offset0:74 offset1:182
	ds_load_2addr_b64 v[0:3], v90 offset0:26 offset1:134
	;; [unrolled: 1-line block ×5, first 2 shown]
	ds_load_b64 v[122:123], v134 offset:9168
	s_wait_dscnt 0x4
	v_dual_mov_b32 v8, v12 :: v_dual_mov_b32 v11, v3
	v_dual_mov_b32 v10, v2 :: v_dual_mov_b32 v23, v1
	s_wait_dscnt 0x3
	v_dual_mov_b32 v22, v0 :: v_dual_mov_b32 v21, v7
	v_dual_mov_b32 v9, v13 :: v_dual_mov_b32 v20, v6
	s_wait_dscnt 0x2
	v_mov_b32_e32 v6, v139
	v_dual_mov_b32 v12, v137 :: v_dual_mov_b32 v13, v138
	v_mov_b32_e32 v7, v140
.LBB0_12:
	s_wait_alu 0xfffe
	s_or_b32 exec_lo, exec_lo, s1
	v_add_f64_e32 v[0:1], v[32:33], v[64:65]
	v_add_f64_e32 v[2:3], v[52:53], v[40:41]
	v_add_f64_e32 v[110:111], v[84:85], v[80:81]
	v_add_f64_e32 v[64:65], v[64:65], v[24:25]
	v_add_f64_e64 v[30:31], v[62:63], -v[30:31]
	v_add_f64_e32 v[62:63], v[112:113], v[72:73]
	v_mul_f64_e32 v[72:73], s[6:7], v[98:99]
	v_add_f64_e32 v[40:41], v[40:41], v[28:29]
	v_add_f64_e32 v[88:89], v[108:109], v[88:89]
	;; [unrolled: 1-line block ×3, first 2 shown]
	v_mul_f64_e32 v[98:99], -0.5, v[130:131]
	v_add_f64_e32 v[76:77], v[100:101], v[76:77]
	v_mul_f64_e32 v[74:75], s[6:7], v[74:75]
	global_wb scope:SCOPE_SE
	s_wait_dscnt 0x0
	s_barrier_signal -1
	s_barrier_wait -1
	global_inv scope:SCOPE_SE
	v_fma_f64 v[0:1], v[0:1], -0.5, v[24:25]
	v_add_f64_e64 v[24:25], v[38:39], -v[50:51]
	v_mul_f64_e32 v[38:39], s[6:7], v[86:87]
	v_fma_f64 v[2:3], v[2:3], -0.5, v[28:29]
	v_mul_f64_e32 v[50:51], -0.5, v[132:133]
	v_add_f64_e64 v[28:29], v[78:79], -v[82:83]
	v_fma_f64 v[68:69], v[110:111], -0.5, v[68:69]
	v_mul_f64_e32 v[78:79], -0.5, v[128:129]
	v_add_f64_e32 v[32:33], v[32:33], v[64:65]
	v_add_f64_e32 v[62:63], v[104:105], v[62:63]
	v_fma_f64 v[82:83], v[126:127], 0.5, v[72:73]
	v_add_f64_e32 v[40:41], v[52:53], v[40:41]
	v_add_f64_e32 v[52:53], v[96:97], v[88:89]
	v_add_f64_e32 v[80:81], v[84:85], v[80:81]
	v_fma_f64 v[26:27], v[26:27], s[6:7], v[98:99]
	v_add_f64_e32 v[76:77], v[92:93], v[76:77]
                                        ; implicit-def: $vgpr126_vgpr127
	v_fma_f64 v[84:85], v[30:31], s[6:7], v[0:1]
	v_fma_f64 v[0:1], v[30:31], s[2:3], v[0:1]
	v_fma_f64 v[86:87], v[116:117], 0.5, v[38:39]
	v_fma_f64 v[92:93], v[24:25], s[6:7], v[2:3]
	v_fma_f64 v[88:89], v[66:67], s[6:7], v[50:51]
	;; [unrolled: 1-line block ×3, first 2 shown]
	v_fma_f64 v[24:25], v[114:115], 0.5, v[74:75]
	v_fma_f64 v[96:97], v[28:29], s[6:7], v[68:69]
	v_fma_f64 v[78:79], v[70:71], s[6:7], v[78:79]
	;; [unrolled: 1-line block ×3, first 2 shown]
	v_add_f64_e32 v[38:39], v[62:63], v[32:33]
	v_add_f64_e64 v[64:65], v[32:33], -v[62:63]
	v_add_f64_e32 v[66:67], v[52:53], v[40:41]
	v_add_f64_e64 v[72:73], v[40:41], -v[52:53]
                                        ; implicit-def: $vgpr32_vgpr33
	v_add_f64_e32 v[50:51], v[76:77], v[80:81]
	v_add_f64_e64 v[30:31], v[80:81], -v[76:77]
	v_add_f64_e32 v[40:41], v[84:85], v[82:83]
	v_add_f64_e32 v[62:63], v[0:1], v[26:27]
	v_add_f64_e64 v[74:75], v[84:85], -v[82:83]
	v_add_f64_e64 v[76:77], v[0:1], -v[26:27]
	v_add_f64_e32 v[68:69], v[92:93], v[86:87]
	v_add_f64_e32 v[70:71], v[2:3], v[88:89]
	v_add_f64_e64 v[0:1], v[92:93], -v[86:87]
	;; [unrolled: 4-line block ×3, first 2 shown]
	v_add_f64_e64 v[26:27], v[98:99], -v[78:79]
	ds_store_b128 v102, v[38:41]
	ds_store_b128 v102, v[62:65] offset:16
	ds_store_b128 v102, v[74:77] offset:32
	ds_store_b128 v106, v[66:69]
	ds_store_b128 v106, v[70:73] offset:16
	ds_store_b128 v106, v[0:3] offset:32
	;; [unrolled: 3-line block ×3, first 2 shown]
	global_wb scope:SCOPE_SE
	s_wait_dscnt 0x0
	s_barrier_signal -1
	s_barrier_wait -1
	global_inv scope:SCOPE_SE
	ds_load_b64 v[0:1], v135
	ds_load_2addr_b64 v[110:113], v134 offset0:108 offset1:216
	ds_load_2addr_b64 v[74:77], v90 offset0:68 offset1:176
	;; [unrolled: 1-line block ×5, first 2 shown]
                                        ; implicit-def: $vgpr40_vgpr41
	s_and_saveexec_b32 s1, s0
	s_cbranch_execz .LBB0_14
; %bb.13:
	v_add_nc_u32_e32 v2, 0x1400, v134
	v_add_nc_u32_e32 v3, 0xc00, v134
	;; [unrolled: 1-line block ×3, first 2 shown]
	ds_load_2addr_b64 v[66:69], v134 offset0:66 offset1:174
	ds_load_2addr_b64 v[30:33], v2 offset0:74 offset1:182
	ds_load_2addr_b64 v[70:73], v3 offset0:114 offset1:222
	ds_load_2addr_b64 v[82:85], v24 offset0:26 offset1:134
	v_add_nc_u32_e32 v2, 0x1c00, v134
	s_wait_dscnt 0x3
	v_mov_b32_e32 v50, v68
	s_wait_dscnt 0x2
	v_mov_b32_e32 v26, v30
	s_wait_dscnt 0x1
	v_dual_mov_b32 v24, v72 :: v_dual_mov_b32 v25, v73
	ds_load_b64 v[126:127], v134 offset:9168
	ds_load_2addr_b64 v[38:41], v2 offset0:34 offset1:142
	v_dual_mov_b32 v27, v31 :: v_dual_mov_b32 v30, v70
	s_wait_dscnt 0x2
	v_mov_b32_e32 v28, v84
	v_mov_b32_e32 v52, v82
	v_dual_mov_b32 v2, v66 :: v_dual_mov_b32 v3, v67
	v_mov_b32_e32 v51, v69
	v_mov_b32_e32 v31, v71
	;; [unrolled: 1-line block ×4, first 2 shown]
.LBB0_14:
	s_wait_alu 0xfffe
	s_or_b32 exec_lo, exec_lo, s1
	v_and_b32_e32 v66, 0xff, v118
	v_add_nc_u32_e32 v132, 0x42, v118
	s_mov_b32 s10, 0xf8bb580b
	s_mov_b32 s2, 0x8eee2c13
	;; [unrolled: 1-line block ×3, first 2 shown]
	v_mul_lo_u16 v66, 0xab, v66
	v_and_b32_e32 v67, 0xff, v132
	s_mov_b32 s12, 0xbb3a28a1
	s_mov_b32 s11, 0xbfe14ced
	;; [unrolled: 1-line block ×3, first 2 shown]
	v_lshrrev_b16 v119, 10, v66
	v_mul_lo_u16 v67, 0xab, v67
	s_mov_b32 s7, 0xbfefac9e
	s_mov_b32 s13, 0xbfe82f19
	;; [unrolled: 1-line block ×3, first 2 shown]
	v_mul_lo_u16 v66, v119, 6
	v_lshrrev_b16 v137, 10, v67
	s_mov_b32 s22, 0x8764f0ba
	s_mov_b32 s26, 0xd9c712b6
	;; [unrolled: 1-line block ×3, first 2 shown]
	v_sub_nc_u16 v66, v118, v66
	v_mul_lo_u16 v67, v137, 6
	s_mov_b32 s30, 0x7f775887
	s_mov_b32 s15, 0xbfd207e7
	;; [unrolled: 1-line block ×3, first 2 shown]
	v_and_b32_e32 v133, 0xff, v66
	v_sub_nc_u16 v67, v132, v67
	s_mov_b32 s19, 0x3fefac9e
	s_mov_b32 s21, 0x3fe14ced
	;; [unrolled: 1-line block ×3, first 2 shown]
	v_mul_u32_u24_e32 v66, 10, v133
	v_and_b32_e32 v138, 0xff, v67
	s_mov_b32 s27, 0x3fda9628
	s_mov_b32 s25, 0x3fed1bb4
	;; [unrolled: 1-line block ×3, first 2 shown]
	v_lshlrev_b32_e32 v66, 4, v66
	v_mul_u32_u24_e32 v67, 10, v138
	s_mov_b32 s31, 0xbfe4f49e
	s_wait_alu 0xfffe
	s_mov_b32 s16, s14
	s_mov_b32 s18, s6
	s_clause 0x7
	global_load_b128 v[140:143], v66, s[4:5]
	global_load_b128 v[144:147], v66, s[4:5] offset:144
	global_load_b128 v[148:151], v66, s[4:5] offset:16
	;; [unrolled: 1-line block ×7, first 2 shown]
	v_lshlrev_b32_e32 v139, 4, v67
	s_clause 0x1
	global_load_b128 v[90:93], v66, s[4:5] offset:64
	global_load_b128 v[86:89], v66, s[4:5] offset:80
	s_mov_b32 s20, s10
	s_clause 0x2
	global_load_b128 v[106:109], v139, s[4:5]
	global_load_b128 v[66:69], v139, s[4:5] offset:16
	global_load_b128 v[70:73], v139, s[4:5] offset:32
	s_mov_b32 s24, s2
	s_mov_b32 s34, 0x9bcd5057
	;; [unrolled: 1-line block ×3, first 2 shown]
	s_wait_loadcnt 0xc
	v_mul_f64_e32 v[128:129], v[54:55], v[142:143]
	s_wait_loadcnt 0xb
	v_mul_f64_e32 v[130:131], v[60:61], v[146:147]
	;; [unrolled: 2-line block ×4, first 2 shown]
	s_wait_dscnt 0x4
	v_mul_f64_e32 v[142:143], v[110:111], v[142:143]
	s_wait_dscnt 0x0
	v_mul_f64_e32 v[146:147], v[116:117], v[146:147]
	s_wait_loadcnt 0x8
	v_mul_f64_e32 v[160:161], v[42:43], v[96:97]
	s_wait_loadcnt 0x7
	;; [unrolled: 2-line block ×4, first 2 shown]
	v_mul_f64_e32 v[166:167], v[46:47], v[104:105]
	v_mul_f64_e32 v[150:151], v[112:113], v[150:151]
	;; [unrolled: 1-line block ×4, first 2 shown]
	v_fma_f64 v[128:129], v[110:111], v[140:141], -v[128:129]
	v_fma_f64 v[110:111], v[116:117], v[144:145], -v[130:131]
	;; [unrolled: 1-line block ×4, first 2 shown]
	v_fma_f64 v[114:115], v[54:55], v[140:141], v[142:143]
	v_fma_f64 v[130:131], v[60:61], v[144:145], v[146:147]
	v_mul_f64_e32 v[142:143], v[74:75], v[96:97]
	v_fma_f64 v[96:97], v[74:75], v[94:95], -v[160:161]
	v_fma_f64 v[54:55], v[80:81], v[98:99], -v[162:163]
	v_mul_f64_e32 v[80:81], v[76:77], v[84:85]
	v_mul_f64_e32 v[84:85], v[78:79], v[104:105]
	v_fma_f64 v[74:75], v[76:77], v[82:83], -v[164:165]
	v_fma_f64 v[60:61], v[78:79], v[102:103], -v[166:167]
	v_fma_f64 v[76:77], v[56:57], v[148:149], v[150:151]
	v_fma_f64 v[78:79], v[58:59], v[152:153], v[154:155]
	s_wait_loadcnt 0x4
	v_mul_f64_e32 v[58:59], v[62:63], v[92:93]
	v_mul_f64_e32 v[146:147], v[34:35], v[92:93]
	s_wait_loadcnt 0x3
	v_mul_f64_e32 v[148:149], v[64:65], v[88:89]
	v_fma_f64 v[98:99], v[48:49], v[98:99], v[100:101]
	v_mul_f64_e32 v[48:49], v[36:37], v[88:89]
	s_wait_loadcnt 0x1
	v_mul_f64_e32 v[152:153], v[52:53], v[68:69]
	v_add_f64_e64 v[140:141], v[128:129], -v[110:111]
	v_add_f64_e64 v[56:57], v[116:117], -v[112:113]
	v_add_f64_e32 v[104:105], v[114:115], v[130:131]
	v_fma_f64 v[94:95], v[42:43], v[94:95], v[142:143]
	v_mul_f64_e32 v[142:143], v[50:51], v[108:109]
	v_add_f64_e64 v[42:43], v[96:97], -v[54:55]
	v_mul_f64_e32 v[108:109], v[20:21], v[108:109]
	v_fma_f64 v[88:89], v[44:45], v[82:83], v[80:81]
	v_fma_f64 v[92:93], v[46:47], v[102:103], v[84:85]
	v_add_f64_e64 v[80:81], v[74:75], -v[60:61]
	v_mul_f64_e32 v[46:47], v[22:23], v[68:69]
	s_wait_loadcnt 0x0
	v_mul_f64_e32 v[84:85], v[28:29], v[72:73]
	v_mul_f64_e32 v[72:73], v[10:11], v[72:73]
	v_fma_f64 v[34:35], v[34:35], v[90:91], v[58:59]
	v_fma_f64 v[90:91], v[62:63], v[90:91], -v[146:147]
	v_fma_f64 v[82:83], v[36:37], v[86:87], v[148:149]
	v_fma_f64 v[86:87], v[64:65], v[86:87], -v[48:49]
	v_fma_f64 v[36:37], v[22:23], v[66:67], v[152:153]
	global_load_b128 v[100:103], v139, s[4:5] offset:48
	v_mul_f64_e32 v[144:145], s[10:11], v[140:141]
	v_mul_f64_e32 v[150:151], s[2:3], v[140:141]
	;; [unrolled: 1-line block ×5, first 2 shown]
	v_add_f64_e32 v[140:141], v[76:77], v[78:79]
	v_mul_f64_e32 v[156:157], s[2:3], v[56:57]
	v_mul_f64_e32 v[158:159], s[12:13], v[56:57]
	;; [unrolled: 1-line block ×3, first 2 shown]
	s_wait_alu 0xfffe
	v_mul_f64_e32 v[62:63], s[18:19], v[56:57]
	v_mul_f64_e32 v[146:147], s[20:21], v[56:57]
	v_add_f64_e32 v[148:149], v[94:95], v[98:99]
	v_mul_f64_e32 v[162:163], s[6:7], v[42:43]
	v_mul_f64_e32 v[48:49], s[16:17], v[42:43]
	v_fma_f64 v[56:57], v[20:21], v[106:107], v[142:143]
	v_mul_f64_e32 v[20:21], s[24:25], v[42:43]
	v_fma_f64 v[50:51], v[50:51], v[106:107], -v[108:109]
	v_mul_f64_e32 v[108:109], s[10:11], v[42:43]
	v_add_f64_e32 v[152:153], v[88:89], v[92:93]
	v_mul_f64_e32 v[166:167], s[12:13], v[80:81]
	v_fma_f64 v[46:47], v[52:53], v[66:67], -v[46:47]
	v_mul_f64_e32 v[52:53], s[18:19], v[80:81]
	v_fma_f64 v[58:59], v[104:105], s[22:23], v[144:145]
	v_fma_f64 v[144:145], v[104:105], s[22:23], -v[144:145]
	v_fma_f64 v[64:65], v[104:105], s[26:27], v[150:151]
	v_fma_f64 v[106:107], v[104:105], s[26:27], -v[150:151]
	;; [unrolled: 2-line block ×3, first 2 shown]
	v_mul_f64_e32 v[150:151], s[12:13], v[42:43]
	v_fma_f64 v[154:155], v[104:105], s[30:31], v[44:45]
	v_fma_f64 v[164:165], v[104:105], s[30:31], -v[44:45]
	v_fma_f64 v[66:67], v[104:105], s[34:35], v[68:69]
	v_fma_f64 v[42:43], v[10:11], v[70:71], v[84:85]
	v_mul_f64_e32 v[10:11], s[10:11], v[80:81]
	v_fma_f64 v[44:45], v[28:29], v[70:71], -v[72:73]
	v_mul_f64_e32 v[28:29], s[14:15], v[80:81]
	v_mul_f64_e32 v[70:71], s[24:25], v[80:81]
	v_fma_f64 v[72:73], v[104:105], s[34:35], -v[68:69]
	v_fma_f64 v[68:69], v[140:141], s[26:27], v[156:157]
	v_fma_f64 v[80:81], v[140:141], s[26:27], -v[156:157]
	v_fma_f64 v[84:85], v[140:141], s[30:31], v[158:159]
	;; [unrolled: 2-line block ×9, first 2 shown]
	v_fma_f64 v[108:109], v[148:149], s[22:23], -v[108:109]
	v_add_f64_e32 v[58:59], v[124:125], v[58:59]
	v_add_f64_e32 v[144:145], v[124:125], v[144:145]
	;; [unrolled: 1-line block ×5, first 2 shown]
	global_load_b128 v[20:23], v139, s[4:5] offset:64
	v_add_f64_e32 v[142:143], v[124:125], v[142:143]
	v_fma_f64 v[182:183], v[148:149], s[30:31], v[150:151]
	v_fma_f64 v[184:185], v[148:149], s[30:31], -v[150:151]
	v_add_f64_e32 v[146:147], v[124:125], v[154:155]
	v_add_f64_e32 v[148:149], v[124:125], v[164:165]
	v_fma_f64 v[154:155], v[152:153], s[30:31], v[166:167]
	v_fma_f64 v[164:165], v[152:153], s[30:31], -v[166:167]
	v_fma_f64 v[166:167], v[152:153], s[28:29], v[52:53]
	v_fma_f64 v[52:53], v[152:153], s[28:29], -v[52:53]
	;; [unrolled: 2-line block ×5, first 2 shown]
	v_add_f64_e32 v[66:67], v[124:125], v[66:67]
	v_add_f64_e32 v[72:73], v[124:125], v[72:73]
	;; [unrolled: 1-line block ×5, first 2 shown]
	global_load_b128 v[68:71], v139, s[4:5] offset:80
	v_add_f64_e32 v[64:65], v[84:85], v[64:65]
	v_add_f64_e32 v[84:85], v[104:105], v[106:107]
	global_load_b128 v[104:107], v139, s[4:5] offset:96
	v_add_f64_e32 v[156:157], v[156:157], v[140:141]
	v_add_f64_e32 v[158:159], v[158:159], v[142:143]
	global_load_b128 v[140:143], v139, s[4:5] offset:112
	v_add_f64_e32 v[160:161], v[160:161], v[146:147]
	global_load_b128 v[144:147], v139, s[4:5] offset:128
	;; [unrolled: 2-line block ×3, first 2 shown]
	global_wb scope:SCOPE_SE
	s_wait_loadcnt 0x0
	s_barrier_signal -1
	s_barrier_wait -1
	global_inv scope:SCOPE_SE
	v_add_f64_e32 v[66:67], v[168:169], v[66:67]
	v_add_f64_e64 v[168:169], v[90:91], -v[86:87]
	v_add_f64_e32 v[124:125], v[124:125], v[76:77]
	v_add_f64_e32 v[72:73], v[170:171], v[72:73]
	;; [unrolled: 1-line block ×12, first 2 shown]
	v_mul_f64_e32 v[174:175], s[14:15], v[168:169]
	v_add_f64_e32 v[124:125], v[124:125], v[94:95]
	v_mul_f64_e32 v[176:177], s[20:21], v[168:169]
	v_mul_f64_e32 v[108:109], s[12:13], v[168:169]
	;; [unrolled: 1-line block ×4, first 2 shown]
	v_add_f64_e32 v[72:73], v[184:185], v[72:73]
	v_add_f64_e32 v[154:155], v[154:155], v[58:59]
	;; [unrolled: 1-line block ×8, first 2 shown]
	v_fma_f64 v[182:183], v[84:85], s[26:27], v[180:181]
	v_fma_f64 v[180:181], v[84:85], s[26:27], -v[180:181]
	v_fma_f64 v[184:185], v[84:85], s[28:29], v[168:169]
	v_fma_f64 v[168:169], v[84:85], s[28:29], -v[168:169]
	v_add_f64_e32 v[152:153], v[152:153], v[72:73]
	v_add_f64_e32 v[124:125], v[124:125], v[34:35]
	s_delay_alu instid0(VALU_DEP_1) | instskip(SKIP_2) | instid1(VALU_DEP_3)
	v_add_f64_e32 v[124:125], v[124:125], v[82:83]
	v_mul_f64_e32 v[170:171], v[30:31], v[102:103]
	v_mul_f64_e32 v[102:103], v[12:13], v[102:103]
	v_add_f64_e32 v[124:125], v[124:125], v[92:93]
	s_delay_alu instid0(VALU_DEP_3) | instskip(SKIP_1) | instid1(VALU_DEP_3)
	v_fma_f64 v[64:65], v[12:13], v[100:101], v[170:171]
	v_fma_f64 v[170:171], v[84:85], s[22:23], v[176:177]
	v_add_f64_e32 v[124:125], v[124:125], v[98:99]
	v_mul_f64_e32 v[178:179], v[24:25], v[22:23]
	v_mul_f64_e32 v[22:23], v[6:7], v[22:23]
	s_delay_alu instid0(VALU_DEP_3)
	v_add_f64_e32 v[124:125], v[124:125], v[78:79]
	v_mul_f64_e32 v[162:163], v[26:27], v[70:71]
	v_mul_f64_e32 v[12:13], v[8:9], v[70:71]
	v_fma_f64 v[70:71], v[30:31], v[100:101], -v[102:103]
	v_fma_f64 v[30:31], v[84:85], s[34:35], v[174:175]
	v_fma_f64 v[102:103], v[84:85], s[34:35], -v[174:175]
	v_fma_f64 v[174:175], v[84:85], s[22:23], -v[176:177]
	v_fma_f64 v[176:177], v[84:85], s[30:31], v[108:109]
	v_fma_f64 v[108:109], v[84:85], s[30:31], -v[108:109]
	v_mul_f64_e32 v[84:85], v[32:33], v[106:107]
	v_mul_f64_e32 v[100:101], v[14:15], v[106:107]
	v_add_f64_e32 v[106:107], v[166:167], v[172:173]
	v_mul_f64_e32 v[166:167], v[38:39], v[142:143]
	v_add_f64_e32 v[172:173], v[52:53], v[48:49]
	;; [unrolled: 2-line block ×3, first 2 shown]
	v_mul_f64_e32 v[156:157], v[40:41], v[146:147]
	v_mul_f64_e32 v[146:147], v[18:19], v[146:147]
	;; [unrolled: 1-line block ×4, first 2 shown]
	v_fma_f64 v[52:53], v[6:7], v[20:21], v[178:179]
	v_fma_f64 v[66:67], v[24:25], v[20:21], -v[22:23]
	v_add_f64_e32 v[20:21], v[184:185], v[188:189]
	v_add_f64_e32 v[22:23], v[168:169], v[152:153]
	;; [unrolled: 1-line block ×3, first 2 shown]
	v_fma_f64 v[58:59], v[8:9], v[68:69], v[162:163]
	v_fma_f64 v[68:69], v[26:27], v[68:69], -v[12:13]
	v_add_f64_e32 v[6:7], v[30:31], v[154:155]
	v_add_f64_e32 v[26:27], v[102:103], v[158:159]
	v_and_b32_e32 v102, 0xffff, v137
	v_lshlrev_b32_e32 v103, 3, v138
	v_add_f64_e32 v[10:11], v[108:109], v[10:11]
	v_fma_f64 v[72:73], v[14:15], v[104:105], v[84:85]
	v_fma_f64 v[62:63], v[32:33], v[104:105], -v[100:101]
	v_add_f64_e32 v[8:9], v[170:171], v[106:107]
	v_fma_f64 v[80:81], v[16:17], v[140:141], v[166:167]
	v_add_f64_e32 v[16:17], v[182:183], v[160:161]
	v_fma_f64 v[48:49], v[38:39], v[140:141], -v[48:49]
	v_add_f64_e32 v[14:15], v[176:177], v[142:143]
	v_fma_f64 v[84:85], v[18:19], v[144:145], v[156:157]
	v_fma_f64 v[38:39], v[40:41], v[144:145], -v[146:147]
	v_fma_f64 v[100:101], v[122:123], v[148:149], v[186:187]
	v_fma_f64 v[40:41], v[126:127], v[148:149], -v[150:151]
	v_add_f64_e32 v[18:19], v[180:181], v[28:29]
	v_add_f64_e32 v[12:13], v[174:175], v[172:173]
	v_and_b32_e32 v28, 0xffff, v119
	v_lshlrev_b32_e32 v29, 3, v133
	s_delay_alu instid0(VALU_DEP_2) | instskip(NEXT) | instid1(VALU_DEP_1)
	v_mad_u32_u24 v28, 0x210, v28, 0
	v_add3_u32 v104, v28, v29, v136
	ds_store_2addr_b64 v104, v[8:9], v[14:15] offset0:12 offset1:18
	ds_store_2addr_b64 v104, v[16:17], v[20:21] offset0:24 offset1:30
	;; [unrolled: 1-line block ×4, first 2 shown]
	ds_store_2addr_b64 v104, v[24:25], v[6:7] offset1:6
	ds_store_b64 v104, v[26:27] offset:480
	s_and_saveexec_b32 s1, s0
	s_cbranch_execz .LBB0_16
; %bb.15:
	v_add_f64_e32 v[6:7], v[4:5], v[56:57]
	v_add_f64_e64 v[8:9], v[50:51], -v[40:41]
	v_add_f64_e64 v[10:11], v[46:47], -v[38:39]
	v_add_f64_e32 v[12:13], v[56:57], v[100:101]
	v_add_f64_e64 v[22:23], v[44:45], -v[48:49]
	v_add_f64_e32 v[24:25], v[36:37], v[84:85]
	v_add_f64_e32 v[137:138], v[42:43], v[80:81]
	v_add_f64_e32 v[6:7], v[6:7], v[36:37]
	v_mul_f64_e32 v[14:15], s[14:15], v[8:9]
	v_mul_f64_e32 v[16:17], s[12:13], v[8:9]
	;; [unrolled: 1-line block ×15, first 2 shown]
	v_add_f64_e32 v[6:7], v[6:7], v[42:43]
	v_fma_f64 v[105:106], v[12:13], s[34:35], -v[14:15]
	v_fma_f64 v[14:15], v[12:13], s[34:35], v[14:15]
	v_fma_f64 v[107:108], v[12:13], s[30:31], -v[16:17]
	v_fma_f64 v[16:17], v[12:13], s[30:31], v[16:17]
	v_fma_f64 v[122:123], v[12:13], s[28:29], v[18:19]
	;; [unrolled: 1-line block ×3, first 2 shown]
	v_fma_f64 v[18:19], v[12:13], s[28:29], -v[18:19]
	v_fma_f64 v[20:21], v[12:13], s[26:27], -v[20:21]
	v_fma_f64 v[126:127], v[12:13], s[22:23], v[8:9]
	v_fma_f64 v[8:9], v[12:13], s[22:23], -v[8:9]
	v_add_f64_e64 v[12:13], v[70:71], -v[62:63]
	v_fma_f64 v[147:148], v[24:25], s[22:23], -v[26:27]
	v_fma_f64 v[26:27], v[24:25], s[22:23], v[26:27]
	v_fma_f64 v[149:150], v[24:25], s[28:29], -v[28:29]
	v_fma_f64 v[28:29], v[24:25], s[28:29], v[28:29]
	;; [unrolled: 2-line block ×5, first 2 shown]
	v_fma_f64 v[165:166], v[137:138], s[30:31], -v[139:140]
	v_fma_f64 v[167:168], v[137:138], s[22:23], -v[141:142]
	;; [unrolled: 1-line block ×3, first 2 shown]
	v_fma_f64 v[143:144], v[137:138], s[26:27], v[143:144]
	v_fma_f64 v[171:172], v[137:138], s[34:35], -v[145:146]
	v_fma_f64 v[145:146], v[137:138], s[34:35], v[145:146]
	v_fma_f64 v[139:140], v[137:138], s[30:31], v[139:140]
	;; [unrolled: 1-line block ×3, first 2 shown]
	v_fma_f64 v[173:174], v[137:138], s[28:29], -v[22:23]
	v_fma_f64 v[22:23], v[137:138], s[28:29], v[22:23]
	v_add_f64_e32 v[6:7], v[6:7], v[64:65]
	v_add_f64_e32 v[24:25], v[4:5], v[105:106]
	;; [unrolled: 1-line block ×11, first 2 shown]
	v_add_f64_e64 v[8:9], v[66:67], -v[68:69]
	v_add_f64_e32 v[126:127], v[64:65], v[72:73]
	v_mul_f64_e32 v[157:158], s[24:25], v[12:13]
	v_mul_f64_e32 v[159:160], s[14:15], v[12:13]
	;; [unrolled: 1-line block ×5, first 2 shown]
	v_add_f64_e32 v[6:7], v[6:7], v[52:53]
	v_add_f64_e32 v[24:25], v[147:148], v[24:25]
	;; [unrolled: 1-line block ×12, first 2 shown]
	v_mul_f64_e32 v[105:106], s[6:7], v[8:9]
	v_mul_f64_e32 v[107:108], s[24:25], v[8:9]
	v_mul_f64_e32 v[122:123], s[12:13], v[8:9]
	v_mul_f64_e32 v[124:125], s[20:21], v[8:9]
	v_fma_f64 v[137:138], v[126:127], s[26:27], -v[157:158]
	v_fma_f64 v[149:150], v[126:127], s[34:35], -v[159:160]
	v_fma_f64 v[151:152], v[126:127], s[34:35], v[159:160]
	v_fma_f64 v[155:156], v[126:127], s[22:23], v[161:162]
	;; [unrolled: 1-line block ×4, first 2 shown]
	v_fma_f64 v[153:154], v[126:127], s[22:23], -v[161:162]
	v_fma_f64 v[157:158], v[126:127], s[28:29], -v[163:164]
	v_mul_f64_e32 v[8:9], s[14:15], v[8:9]
	v_fma_f64 v[161:162], v[126:127], s[30:31], -v[12:13]
	v_fma_f64 v[12:13], v[126:127], s[30:31], v[12:13]
	v_add_f64_e32 v[6:7], v[6:7], v[58:59]
	v_add_f64_e32 v[24:25], v[165:166], v[24:25]
	;; [unrolled: 1-line block ×11, first 2 shown]
	v_fma_f64 v[22:23], v[32:33], s[28:29], -v[105:106]
	v_fma_f64 v[126:127], v[32:33], s[26:27], -v[107:108]
	;; [unrolled: 1-line block ×3, first 2 shown]
	v_fma_f64 v[122:123], v[32:33], s[30:31], v[122:123]
	v_fma_f64 v[141:142], v[32:33], s[22:23], -v[124:125]
	v_fma_f64 v[124:125], v[32:33], s[22:23], v[124:125]
	v_fma_f64 v[105:106], v[32:33], s[28:29], v[105:106]
	v_fma_f64 v[107:108], v[32:33], s[26:27], v[107:108]
	v_fma_f64 v[143:144], v[32:33], s[34:35], -v[8:9]
	v_fma_f64 v[8:9], v[32:33], s[34:35], v[8:9]
	v_add_f64_e32 v[6:7], v[6:7], v[72:73]
	v_add_f64_e32 v[24:25], v[137:138], v[24:25]
	;; [unrolled: 1-line block ×22, first 2 shown]
	v_mad_u32_u24 v10, 0x210, v102, 0
	s_delay_alu instid0(VALU_DEP_1) | instskip(SKIP_1) | instid1(VALU_DEP_1)
	v_add3_u32 v10, v10, v103, v136
	v_add_f64_e32 v[6:7], v[6:7], v[84:85]
	v_add_f64_e32 v[6:7], v[6:7], v[100:101]
	ds_store_2addr_b64 v10, v[26:27], v[24:25] offset0:12 offset1:18
	ds_store_2addr_b64 v10, v[16:17], v[14:15] offset0:24 offset1:30
	;; [unrolled: 1-line block ×4, first 2 shown]
	ds_store_2addr_b64 v10, v[6:7], v[8:9] offset1:6
	ds_store_b64 v10, v[4:5] offset:480
.LBB0_16:
	s_wait_alu 0xfffe
	s_or_b32 exec_lo, exec_lo, s1
	v_add_f64_e32 v[4:5], v[0:1], v[128:129]
	v_add_f64_e32 v[6:7], v[128:129], v[110:111]
	;; [unrolled: 1-line block ×3, first 2 shown]
	v_add_f64_e64 v[10:11], v[114:115], -v[130:131]
	s_mov_b32 s37, 0x3fe82f19
	s_mov_b32 s36, s12
	v_add_f64_e32 v[20:21], v[96:97], v[54:55]
	v_add_f64_e64 v[22:23], v[76:77], -v[78:79]
	global_wb scope:SCOPE_SE
	s_wait_dscnt 0x0
	s_barrier_signal -1
	s_barrier_wait -1
	global_inv scope:SCOPE_SE
	v_add_f64_e32 v[4:5], v[4:5], v[116:117]
	v_mul_f64_e32 v[12:13], s[22:23], v[6:7]
	v_mul_f64_e32 v[14:15], s[26:27], v[6:7]
	;; [unrolled: 1-line block ×12, first 2 shown]
	v_add_f64_e32 v[4:5], v[4:5], v[96:97]
	v_fma_f64 v[32:33], v[10:11], s[20:21], v[12:13]
	v_fma_f64 v[76:77], v[10:11], s[24:25], v[14:15]
	;; [unrolled: 1-line block ×10, first 2 shown]
	v_add_f64_e64 v[12:13], v[94:95], -v[98:99]
	v_mul_f64_e32 v[94:95], s[28:29], v[20:21]
	v_mul_f64_e32 v[98:99], s[34:35], v[20:21]
	;; [unrolled: 1-line block ×3, first 2 shown]
	v_fma_f64 v[116:117], v[22:23], s[24:25], v[24:25]
	v_fma_f64 v[24:25], v[22:23], s[2:3], v[24:25]
	;; [unrolled: 1-line block ×10, first 2 shown]
	v_add_f64_e32 v[4:5], v[4:5], v[74:75]
	v_add_f64_e32 v[74:75], v[74:75], v[60:61]
	;; [unrolled: 1-line block ×12, first 2 shown]
	v_add_f64_e64 v[10:11], v[88:89], -v[92:93]
	v_fma_f64 v[130:131], v[12:13], s[18:19], v[94:95]
	v_fma_f64 v[94:95], v[12:13], s[6:7], v[94:95]
	;; [unrolled: 1-line block ×10, first 2 shown]
	v_add_f64_e32 v[4:5], v[4:5], v[90:91]
	v_mul_f64_e32 v[88:89], s[30:31], v[74:75]
	v_mul_f64_e32 v[92:93], s[22:23], v[74:75]
	v_add_f64_e32 v[20:21], v[116:117], v[22:23]
	v_add_f64_e32 v[22:23], v[122:123], v[32:33]
	;; [unrolled: 1-line block ×4, first 2 shown]
	v_mul_f64_e32 v[105:106], s[34:35], v[74:75]
	v_add_f64_e32 v[32:33], v[126:127], v[78:79]
	v_add_f64_e32 v[18:19], v[30:31], v[18:19]
	;; [unrolled: 1-line block ×6, first 2 shown]
	v_add_f64_e64 v[16:17], v[34:35], -v[82:83]
	v_add_f64_e32 v[4:5], v[4:5], v[86:87]
	v_add_f64_e32 v[86:87], v[90:91], v[86:87]
	v_mul_f64_e32 v[90:91], s[28:29], v[74:75]
	v_mul_f64_e32 v[74:75], s[26:27], v[74:75]
	v_fma_f64 v[78:79], v[10:11], s[36:37], v[88:89]
	v_fma_f64 v[82:83], v[10:11], s[12:13], v[88:89]
	v_add_f64_e32 v[22:23], v[137:138], v[22:23]
	v_add_f64_e32 v[26:27], v[139:140], v[26:27]
	v_fma_f64 v[96:97], v[10:11], s[16:17], v[105:106]
	v_add_f64_e32 v[32:33], v[141:142], v[32:33]
	v_add_f64_e32 v[30:31], v[143:144], v[30:31]
	;; [unrolled: 3-line block ×3, first 2 shown]
	v_add_f64_e32 v[14:15], v[98:99], v[14:15]
	v_add_f64_e32 v[8:9], v[107:108], v[8:9]
	;; [unrolled: 1-line block ×5, first 2 shown]
	v_mul_f64_e32 v[24:25], s[34:35], v[86:87]
	v_mul_f64_e32 v[28:29], s[22:23], v[86:87]
	;; [unrolled: 1-line block ×5, first 2 shown]
	v_fma_f64 v[86:87], v[10:11], s[6:7], v[90:91]
	v_fma_f64 v[88:89], v[10:11], s[18:19], v[90:91]
	v_fma_f64 v[90:91], v[10:11], s[20:21], v[92:93]
	v_fma_f64 v[116:117], v[10:11], s[2:3], v[74:75]
	v_fma_f64 v[92:93], v[10:11], s[10:11], v[92:93]
	v_fma_f64 v[10:11], v[10:11], s[24:25], v[74:75]
	v_add_f64_e32 v[32:33], v[96:97], v[32:33]
	v_add_f64_e32 v[18:19], v[105:106], v[18:19]
	;; [unrolled: 1-line block ×4, first 2 shown]
	v_add_nc_u32_e32 v78, 0x800, v134
	v_add_f64_e32 v[4:5], v[4:5], v[54:55]
	v_fma_f64 v[12:13], v[16:17], s[16:17], v[24:25]
	v_fma_f64 v[54:55], v[16:17], s[10:11], v[28:29]
	v_fma_f64 v[74:75], v[16:17], s[36:37], v[34:35]
	v_fma_f64 v[94:95], v[16:17], s[2:3], v[60:61]
	v_fma_f64 v[98:99], v[16:17], s[18:19], v[76:77]
	v_add_f64_e32 v[22:23], v[86:87], v[22:23]
	v_fma_f64 v[24:25], v[16:17], s[14:15], v[24:25]
	v_add_f64_e32 v[26:27], v[90:91], v[26:27]
	v_add_f64_e32 v[30:31], v[116:117], v[30:31]
	v_fma_f64 v[28:29], v[16:17], s[20:21], v[28:29]
	v_fma_f64 v[34:35], v[16:17], s[12:13], v[34:35]
	;; [unrolled: 1-line block ×4, first 2 shown]
	v_add_f64_e32 v[6:7], v[10:11], v[6:7]
	v_add_f64_e32 v[14:15], v[88:89], v[14:15]
	;; [unrolled: 1-line block ×3, first 2 shown]
	v_add_nc_u32_e32 v76, 0x1800, v134
	v_add_nc_u32_e32 v77, 0x1c00, v134
	v_add_f64_e32 v[4:5], v[4:5], v[112:113]
	v_add_f64_e32 v[82:83], v[12:13], v[20:21]
	;; [unrolled: 1-line block ×6, first 2 shown]
	v_add_nc_u32_e32 v74, 0x1000, v134
	v_add_nc_u32_e32 v75, 0x1400, v134
	v_add_f64_e32 v[94:95], v[60:61], v[18:19]
	v_add_nc_u32_e32 v60, 0x400, v134
	v_add_f64_e32 v[98:99], v[16:17], v[6:7]
	v_add_f64_e32 v[88:89], v[28:29], v[14:15]
	;; [unrolled: 1-line block ×3, first 2 shown]
	v_add_nc_u32_e32 v61, 0xc00, v134
	v_add_f64_e32 v[107:108], v[4:5], v[110:111]
	v_add_f64_e32 v[109:110], v[24:25], v[0:1]
	ds_load_2addr_b64 v[4:7], v134 offset0:66 offset1:132
	ds_load_b64 v[0:1], v135
	ds_load_b64 v[54:55], v134 offset:8976
	ds_load_2addr_b64 v[32:35], v74 offset0:82 offset1:148
	ds_load_2addr_b64 v[20:23], v75 offset0:86 offset1:152
	;; [unrolled: 1-line block ×7, first 2 shown]
	global_wb scope:SCOPE_SE
	s_wait_dscnt 0x0
	s_barrier_signal -1
	s_barrier_wait -1
	global_inv scope:SCOPE_SE
	ds_store_2addr_b64 v104, v[86:87], v[90:91] offset0:12 offset1:18
	ds_store_2addr_b64 v104, v[92:93], v[96:97] offset0:24 offset1:30
	;; [unrolled: 1-line block ×4, first 2 shown]
	ds_store_2addr_b64 v104, v[107:108], v[82:83] offset1:6
	ds_store_b64 v104, v[109:110] offset:480
	s_and_saveexec_b32 s33, s0
	s_cbranch_execz .LBB0_18
; %bb.17:
	v_add_f64_e32 v[82:83], v[2:3], v[50:51]
	v_add_f64_e32 v[50:51], v[50:51], v[40:41]
	s_mov_b32 s24, 0x8764f0ba
	s_mov_b32 s20, 0xd9c712b6
	;; [unrolled: 1-line block ×10, first 2 shown]
	v_add_f64_e64 v[56:57], v[56:57], -v[100:101]
	s_mov_b32 s10, 0xf8bb580b
	s_mov_b32 s0, 0x8eee2c13
	;; [unrolled: 1-line block ×9, first 2 shown]
	s_wait_alu 0xfffe
	s_mov_b32 s12, s0
	s_mov_b32 s17, 0xbfe82f19
	;; [unrolled: 1-line block ×5, first 2 shown]
	v_add_f64_e64 v[36:37], v[36:37], -v[84:85]
	s_mov_b32 s28, s26
	s_mov_b32 s3, 0xbfefac9e
	;; [unrolled: 1-line block ×5, first 2 shown]
	v_add_f64_e64 v[42:43], v[42:43], -v[80:81]
	v_add_f64_e64 v[52:53], v[52:53], -v[58:59]
	v_add_f64_e32 v[82:83], v[82:83], v[46:47]
	v_add_f64_e32 v[46:47], v[46:47], v[38:39]
	v_mul_f64_e32 v[86:87], s[24:25], v[50:51]
	v_mul_f64_e32 v[88:89], s[20:21], v[50:51]
	;; [unrolled: 1-line block ×5, first 2 shown]
	v_add_f64_e32 v[82:83], v[82:83], v[44:45]
	v_add_f64_e32 v[44:45], v[44:45], v[48:49]
	v_mul_f64_e32 v[84:85], s[20:21], v[46:47]
	v_mul_f64_e32 v[94:95], s[22:23], v[46:47]
	;; [unrolled: 1-line block ×5, first 2 shown]
	v_fma_f64 v[100:101], v[56:57], s[10:11], v[86:87]
	v_fma_f64 v[104:105], v[56:57], s[0:1], v[88:89]
	s_wait_alu 0xfffe
	v_fma_f64 v[88:89], v[56:57], s[12:13], v[88:89]
	v_fma_f64 v[106:107], v[56:57], s[6:7], v[90:91]
	;; [unrolled: 1-line block ×8, first 2 shown]
	v_add_f64_e32 v[82:83], v[82:83], v[70:71]
	v_add_f64_e32 v[70:71], v[70:71], v[62:63]
	v_mul_f64_e32 v[79:80], s[18:19], v[44:45]
	v_mul_f64_e32 v[86:87], s[30:31], v[44:45]
	;; [unrolled: 1-line block ×5, first 2 shown]
	v_fma_f64 v[116:117], v[36:37], s[0:1], v[84:85]
	v_fma_f64 v[84:85], v[36:37], s[12:13], v[84:85]
	;; [unrolled: 1-line block ×10, first 2 shown]
	v_add_f64_e32 v[46:47], v[2:3], v[100:101]
	v_add_f64_e32 v[100:101], v[2:3], v[104:105]
	;; [unrolled: 1-line block ×10, first 2 shown]
	v_add_f64_e64 v[56:57], v[64:65], -v[72:73]
	v_add_f64_e32 v[64:65], v[66:67], v[68:69]
	v_add_f64_e32 v[82:83], v[82:83], v[66:67]
	v_mul_f64_e32 v[66:67], s[22:23], v[70:71]
	v_mul_f64_e32 v[72:73], s[24:25], v[70:71]
	;; [unrolled: 1-line block ×3, first 2 shown]
	v_fma_f64 v[130:131], v[42:43], s[6:7], v[79:80]
	v_fma_f64 v[79:80], v[42:43], s[2:3], v[79:80]
	v_fma_f64 v[137:138], v[42:43], s[28:29], v[86:87]
	v_fma_f64 v[86:87], v[42:43], s[26:27], v[86:87]
	v_fma_f64 v[139:140], v[42:43], s[12:13], v[112:113]
	v_fma_f64 v[112:113], v[42:43], s[0:1], v[112:113]
	v_fma_f64 v[141:142], v[42:43], s[10:11], v[114:115]
	v_fma_f64 v[114:115], v[42:43], s[14:15], v[114:115]
	v_fma_f64 v[143:144], v[42:43], s[36:37], v[44:45]
	v_fma_f64 v[42:43], v[42:43], s[16:17], v[44:45]
	v_add_f64_e32 v[44:45], v[116:117], v[46:47]
	v_add_f64_e32 v[46:47], v[122:123], v[100:101]
	;; [unrolled: 1-line block ×10, first 2 shown]
	v_mul_f64_e32 v[58:59], s[30:31], v[64:65]
	v_mul_f64_e32 v[90:91], s[20:21], v[64:65]
	v_add_f64_e32 v[81:82], v[82:83], v[68:69]
	v_mul_f64_e32 v[68:69], s[18:19], v[70:71]
	v_mul_f64_e32 v[70:71], s[20:21], v[70:71]
	;; [unrolled: 1-line block ×3, first 2 shown]
	v_fma_f64 v[96:97], v[56:57], s[36:37], v[66:67]
	v_fma_f64 v[66:67], v[56:57], s[16:17], v[66:67]
	;; [unrolled: 1-line block ×6, first 2 shown]
	v_add_f64_e32 v[44:45], v[130:131], v[44:45]
	v_add_f64_e32 v[46:47], v[137:138], v[46:47]
	;; [unrolled: 1-line block ×6, first 2 shown]
	v_fma_f64 v[50:51], v[52:53], s[26:27], v[58:59]
	v_fma_f64 v[58:59], v[52:53], s[28:29], v[58:59]
	v_add_f64_e32 v[62:63], v[81:82], v[62:63]
	v_mul_f64_e32 v[81:82], s[24:25], v[64:65]
	v_mul_f64_e32 v[64:65], s[18:19], v[64:65]
	v_fma_f64 v[104:105], v[56:57], s[2:3], v[68:69]
	v_fma_f64 v[68:69], v[56:57], s[6:7], v[68:69]
	;; [unrolled: 1-line block ×4, first 2 shown]
	v_add_f64_e32 v[70:71], v[86:87], v[88:89]
	v_add_f64_e32 v[85:86], v[139:140], v[94:95]
	;; [unrolled: 1-line block ×4, first 2 shown]
	v_fma_f64 v[98:99], v[52:53], s[12:13], v[90:91]
	v_fma_f64 v[89:90], v[52:53], s[0:1], v[90:91]
	v_add_f64_e32 v[44:45], v[96:97], v[44:45]
	v_add_f64_e32 v[42:43], v[72:73], v[42:43]
	;; [unrolled: 1-line block ×4, first 2 shown]
	v_fma_f64 v[62:63], v[52:53], s[14:15], v[81:82]
	v_fma_f64 v[79:80], v[52:53], s[10:11], v[81:82]
	;; [unrolled: 1-line block ×6, first 2 shown]
	v_add_f64_e32 v[46:47], v[104:105], v[46:47]
	v_add_f64_e32 v[64:65], v[68:69], v[70:71]
	;; [unrolled: 1-line block ×19, first 2 shown]
	v_mad_u32_u24 v40, 0x210, v102, 0
	s_delay_alu instid0(VALU_DEP_1)
	v_add3_u32 v40, v40, v103, v136
	ds_store_2addr_b64 v40, v[46:47], v[50:51] offset0:12 offset1:18
	ds_store_2addr_b64 v40, v[56:57], v[64:65] offset0:24 offset1:30
	;; [unrolled: 1-line block ×4, first 2 shown]
	ds_store_2addr_b64 v40, v[38:39], v[44:45] offset1:6
	ds_store_b64 v40, v[2:3] offset:480
.LBB0_18:
	s_or_b32 exec_lo, exec_lo, s33
	v_add_nc_u32_e32 v45, 0x84, v118
	v_dual_mov_b32 v119, 0 :: v_dual_add_nc_u32 v44, 0xc6, v118
	v_add_nc_u32_e32 v43, 0x108, v118
	v_add_nc_u32_e32 v42, 0x14a, v118
	s_delay_alu instid0(VALU_DEP_4) | instskip(NEXT) | instid1(VALU_DEP_4)
	v_and_b32_e32 v2, 0xff, v45
	v_and_b32_e32 v3, 0xffff, v44
	v_lshlrev_b64_e32 v[36:37], 4, v[118:119]
	v_add_nc_u32_e32 v50, 0x18c, v118
	v_add_nc_u32_e32 v51, 0x1ce, v118
	v_mul_lo_u16 v2, 0xf9, v2
	v_mul_u32_u24_e32 v3, 0xf83f, v3
	v_add_nc_u32_e32 v52, 0x210, v118
	v_and_b32_e32 v38, 0xffff, v43
	v_and_b32_e32 v39, 0xffff, v42
	v_lshrrev_b16 v2, 14, v2
	v_lshrrev_b32_e32 v3, 22, v3
	v_and_b32_e32 v40, 0xffff, v50
	v_and_b32_e32 v53, 0xffff, v51
	;; [unrolled: 1-line block ×3, first 2 shown]
	v_mul_lo_u16 v2, 0x42, v2
	v_mul_lo_u16 v3, 0x42, v3
	v_mul_u32_u24_e32 v117, 0xf83f, v38
	v_mul_u32_u24_e32 v128, 0xf83f, v39
	;; [unrolled: 1-line block ×3, first 2 shown]
	v_sub_nc_u16 v2, v45, v2
	v_sub_nc_u16 v3, v44, v3
	global_wb scope:SCOPE_SE
	s_wait_dscnt 0x0
	s_barrier_signal -1
	s_barrier_wait -1
	v_and_b32_e32 v126, 0xff, v2
	v_add_co_u32 v2, s0, s4, v36
	v_and_b32_e32 v127, 0xffff, v3
	s_wait_alu 0xf1ff
	v_add_co_ci_u32_e64 v3, s0, s5, v37, s0
	v_lshlrev_b32_e32 v46, 4, v126
	global_inv scope:SCOPE_SE
	v_lshrrev_b32_e32 v57, 22, v57
	s_clause 0x1
	global_load_b128 v[38:41], v[2:3], off offset:960
	global_load_b128 v[46:49], v46, s[4:5] offset:960
	v_mul_u32_u24_e32 v2, 0xf83f, v53
	v_mul_u32_u24_e32 v3, 0xf83f, v56
	v_lshrrev_b32_e32 v53, 22, v117
	v_lshrrev_b32_e32 v56, 22, v128
	v_mul_lo_u16 v57, 0x42, v57
	v_lshrrev_b32_e32 v2, 22, v2
	v_lshrrev_b32_e32 v3, 22, v3
	v_mul_lo_u16 v53, 0x42, v53
	v_mul_lo_u16 v56, 0x42, v56
	v_sub_nc_u16 v50, v50, v57
	v_mul_lo_u16 v2, 0x42, v2
	v_mul_lo_u16 v3, 0x42, v3
	v_sub_nc_u16 v53, v43, v53
	v_sub_nc_u16 v56, v42, v56
	v_and_b32_e32 v131, 0xffff, v50
	v_sub_nc_u16 v2, v51, v2
	v_sub_nc_u16 v3, v52, v3
	v_and_b32_e32 v129, 0xffff, v53
	v_and_b32_e32 v130, 0xffff, v56
	v_lshlrev_b32_e32 v58, 4, v127
	v_and_b32_e32 v133, 0xffff, v2
	v_and_b32_e32 v137, 0xffff, v3
	v_lshlrev_b32_e32 v2, 4, v129
	v_lshlrev_b32_e32 v3, 4, v130
	v_lshlrev_b32_e32 v66, 4, v131
	v_lshlrev_b32_e32 v70, 4, v133
	v_lshlrev_b32_e32 v79, 4, v137
	s_clause 0x5
	global_load_b128 v[50:53], v58, s[4:5] offset:960
	global_load_b128 v[56:59], v2, s[4:5] offset:960
	;; [unrolled: 1-line block ×6, first 2 shown]
	ds_load_2addr_b64 v[83:86], v74 offset0:82 offset1:148
	ds_load_2addr_b64 v[87:90], v75 offset0:86 offset1:152
	;; [unrolled: 1-line block ×4, first 2 shown]
	ds_load_b64 v[2:3], v134 offset:8976
	v_lshlrev_b32_e32 v118, 1, v118
	s_mov_b32 s3, 0x3febb67a
	s_wait_loadcnt_dscnt 0x704
	v_mul_f64_e32 v[99:100], v[83:84], v[40:41]
	v_mul_f64_e32 v[122:123], v[32:33], v[40:41]
	;; [unrolled: 1-line block ×4, first 2 shown]
	s_wait_loadcnt_dscnt 0x603
	v_mul_f64_e32 v[103:104], v[87:88], v[48:49]
	v_mul_f64_e32 v[48:49], v[20:21], v[48:49]
	s_wait_loadcnt 0x5
	v_mul_f64_e32 v[105:106], v[89:90], v[52:53]
	v_mul_f64_e32 v[124:125], v[22:23], v[52:53]
	s_wait_loadcnt_dscnt 0x402
	v_mul_f64_e32 v[107:108], v[91:92], v[58:59]
	v_mul_f64_e32 v[58:59], v[24:25], v[58:59]
	s_wait_loadcnt 0x3
	v_mul_f64_e32 v[109:110], v[93:94], v[64:65]
	v_mul_f64_e32 v[64:65], v[26:27], v[64:65]
	;; [unrolled: 6-line block ×3, first 2 shown]
	s_wait_loadcnt_dscnt 0x0
	v_mul_f64_e32 v[115:116], v[2:3], v[81:82]
	v_mul_f64_e32 v[81:82], v[54:55], v[81:82]
	v_fma_f64 v[32:33], v[32:33], v[38:39], v[99:100]
	v_fma_f64 v[83:84], v[83:84], v[38:39], -v[122:123]
	v_fma_f64 v[34:35], v[34:35], v[38:39], v[101:102]
	v_fma_f64 v[38:39], v[85:86], v[38:39], -v[40:41]
	;; [unrolled: 2-line block ×3, first 2 shown]
	v_lshrrev_b32_e32 v87, 23, v117
	v_lshrrev_b32_e32 v88, 23, v128
	s_delay_alu instid0(VALU_DEP_2) | instskip(NEXT) | instid1(VALU_DEP_2)
	v_mul_lo_u16 v87, 0x84, v87
	v_mul_lo_u16 v88, 0x84, v88
	s_delay_alu instid0(VALU_DEP_2) | instskip(NEXT) | instid1(VALU_DEP_2)
	v_sub_nc_u16 v87, v43, v87
	v_sub_nc_u16 v88, v42, v88
	s_delay_alu instid0(VALU_DEP_2) | instskip(NEXT) | instid1(VALU_DEP_2)
	v_and_b32_e32 v149, 0xffff, v87
	v_and_b32_e32 v150, 0xffff, v88
	v_fma_f64 v[101:102], v[22:23], v[50:51], v[105:106]
	v_fma_f64 v[46:47], v[89:90], v[50:51], -v[124:125]
	v_fma_f64 v[103:104], v[24:25], v[56:57], v[107:108]
	v_fma_f64 v[48:49], v[91:92], v[56:57], -v[58:59]
	;; [unrolled: 2-line block ×6, first 2 shown]
	ds_load_b64 v[113:114], v135
	ds_load_2addr_b64 v[20:23], v134 offset0:66 offset1:132
	ds_load_2addr_b64 v[24:27], v60 offset0:70 offset1:136
	ds_load_2addr_b64 v[28:31], v78 offset0:74 offset1:140
	ds_load_2addr_b64 v[52:55], v61 offset0:78 offset1:144
	v_add_f64_e64 v[62:63], v[0:1], -v[32:33]
	v_lshlrev_b32_e32 v89, 3, v126
	v_add_f64_e64 v[64:65], v[4:5], -v[34:35]
	v_lshlrev_b32_e32 v90, 3, v127
	;; [unrolled: 2-line block ×3, first 2 shown]
	v_lshlrev_b32_e32 v92, 3, v130
	v_lshlrev_b32_e32 v93, 3, v131
	v_add3_u32 v89, 0, v89, v136
	v_add3_u32 v90, 0, v90, v136
	;; [unrolled: 1-line block ×5, first 2 shown]
	v_lshlrev_b64_e32 v[115:116], 4, v[118:119]
	v_lshlrev_b32_e32 v118, 1, v132
	global_wb scope:SCOPE_SE
	s_wait_dscnt 0x0
	v_add_f64_e64 v[38:39], v[20:21], -v[38:39]
	v_add_f64_e64 v[40:41], v[22:23], -v[40:41]
	;; [unrolled: 1-line block ×3, first 2 shown]
	v_lshlrev_b64_e32 v[34:35], 4, v[118:119]
	v_add_co_u32 v32, s0, s4, v115
	s_wait_alu 0xf1ff
	v_add_co_ci_u32_e64 v33, s0, s5, v116, s0
	v_add_f64_e64 v[68:69], v[8:9], -v[101:102]
	v_add_f64_e64 v[46:47], v[24:25], -v[46:47]
	;; [unrolled: 1-line block ×12, first 2 shown]
	v_add_nc_u32_e32 v103, 0x800, v89
	v_add_nc_u32_e32 v104, 0x800, v90
	v_fma_f64 v[0:1], v[0:1], 2.0, -v[62:63]
	v_add_nc_u32_e32 v105, 0x1000, v91
	v_fma_f64 v[2:3], v[4:5], 2.0, -v[64:65]
	;; [unrolled: 2-line block ×3, first 2 shown]
	v_add_nc_u32_e32 v111, 0x1800, v93
	v_add_co_u32 v34, s0, s4, v34
	s_wait_alu 0xf1ff
	v_add_co_ci_u32_e64 v35, s0, s5, v35, s0
	s_barrier_signal -1
	s_barrier_wait -1
	global_inv scope:SCOPE_SE
	s_mov_b32 s0, 0xe8584caa
	s_mov_b32 s1, 0xbfebb67a
	s_wait_alu 0xfffe
	s_mov_b32 s2, s0
	v_fma_f64 v[91:92], v[20:21], 2.0, -v[38:39]
	v_fma_f64 v[93:94], v[22:23], 2.0, -v[40:41]
	;; [unrolled: 1-line block ×15, first 2 shown]
	v_lshlrev_b32_e32 v18, 3, v133
	v_lshlrev_b32_e32 v19, 3, v137
	s_delay_alu instid0(VALU_DEP_2) | instskip(NEXT) | instid1(VALU_DEP_2)
	v_add3_u32 v18, 0, v18, v136
	v_add3_u32 v19, 0, v19, v136
	s_delay_alu instid0(VALU_DEP_2) | instskip(NEXT) | instid1(VALU_DEP_2)
	v_add_nc_u32_e32 v112, 0x1800, v18
	v_add_nc_u32_e32 v113, 0x2000, v19
	ds_store_2addr_b64 v134, v[0:1], v[62:63] offset1:66
	ds_store_2addr_b64 v134, v[2:3], v[64:65] offset0:132 offset1:198
	ds_store_2addr_b64 v103, v[4:5], v[66:67] offset0:8 offset1:74
	;; [unrolled: 1-line block ×8, first 2 shown]
	global_wb scope:SCOPE_SE
	s_wait_dscnt 0x0
	s_barrier_signal -1
	s_barrier_wait -1
	global_inv scope:SCOPE_SE
	ds_load_2addr_b64 v[0:3], v78 offset0:74 offset1:140
	ds_load_2addr_b64 v[4:7], v75 offset0:86 offset1:152
	;; [unrolled: 1-line block ×8, first 2 shown]
	ds_load_b64 v[107:108], v135
	ds_load_b64 v[109:110], v134 offset:8976
	global_wb scope:SCOPE_SE
	s_wait_dscnt 0x0
	s_barrier_signal -1
	s_barrier_wait -1
	global_inv scope:SCOPE_SE
	ds_store_2addr_b64 v134, v[89:90], v[83:84] offset1:66
	ds_store_2addr_b64 v134, v[91:92], v[38:39] offset0:132 offset1:198
	ds_store_2addr_b64 v103, v[93:94], v[40:41] offset0:8 offset1:74
	;; [unrolled: 1-line block ×8, first 2 shown]
	global_wb scope:SCOPE_SE
	s_wait_dscnt 0x0
	s_barrier_signal -1
	s_barrier_wait -1
	global_inv scope:SCOPE_SE
	s_clause 0x3
	global_load_b128 v[38:41], v[32:33], off offset:2032
	global_load_b128 v[46:49], v[32:33], off offset:2016
	;; [unrolled: 1-line block ×4, first 2 shown]
	v_lshlrev_b32_e32 v58, 5, v149
	v_lshlrev_b32_e32 v59, 5, v150
	s_clause 0x3
	global_load_b128 v[62:65], v58, s[4:5] offset:2016
	global_load_b128 v[66:69], v58, s[4:5] offset:2032
	;; [unrolled: 1-line block ×4, first 2 shown]
	ds_load_2addr_b64 v[83:86], v78 offset0:74 offset1:140
	ds_load_2addr_b64 v[87:90], v75 offset0:86 offset1:152
	;; [unrolled: 1-line block ×6, first 2 shown]
	ds_load_b64 v[58:59], v134 offset:8976
	s_wait_loadcnt_dscnt 0x705
	v_mul_f64_e32 v[113:114], v[89:90], v[40:41]
	s_wait_loadcnt 0x6
	v_mul_f64_e32 v[111:112], v[85:86], v[48:49]
	s_wait_loadcnt_dscnt 0x503
	v_mul_f64_e32 v[117:118], v[95:96], v[52:53]
	s_wait_loadcnt 0x4
	v_mul_f64_e32 v[115:116], v[91:92], v[56:57]
	v_mul_f64_e32 v[122:123], v[93:94], v[48:49]
	;; [unrolled: 1-line block ×3, first 2 shown]
	s_wait_dscnt 0x2
	v_mul_f64_e32 v[126:127], v[99:100], v[56:57]
	s_wait_dscnt 0x1
	v_mul_f64_e32 v[128:129], v[103:104], v[52:53]
	s_wait_loadcnt 0x3
	v_mul_f64_e32 v[130:131], v[101:102], v[64:65]
	s_wait_loadcnt 0x2
	;; [unrolled: 2-line block ×3, first 2 shown]
	v_mul_f64_e32 v[137:138], v[87:88], v[72:73]
	s_wait_loadcnt_dscnt 0x0
	v_mul_f64_e32 v[139:140], v[58:59], v[81:82]
	v_mul_f64_e32 v[141:142], v[2:3], v[48:49]
	;; [unrolled: 1-line block ×13, first 2 shown]
	v_fma_f64 v[6:7], v[6:7], v[38:39], v[113:114]
	v_fma_f64 v[111:112], v[2:3], v[46:47], v[111:112]
	;; [unrolled: 1-line block ×12, first 2 shown]
	v_fma_f64 v[85:86], v[85:86], v[46:47], -v[141:142]
	v_fma_f64 v[89:90], v[89:90], v[38:39], -v[143:144]
	v_fma_f64 v[91:92], v[91:92], v[54:55], -v[145:146]
	v_fma_f64 v[95:96], v[95:96], v[50:51], -v[147:148]
	v_fma_f64 v[46:47], v[93:94], v[46:47], -v[48:49]
	v_fma_f64 v[38:39], v[97:98], v[38:39], -v[40:41]
	v_fma_f64 v[40:41], v[99:100], v[54:55], -v[56:57]
	v_fma_f64 v[48:49], v[103:104], v[50:51], -v[52:53]
	v_fma_f64 v[50:51], v[101:102], v[62:63], -v[64:65]
	v_fma_f64 v[52:53], v[105:106], v[66:67], -v[68:69]
	v_fma_f64 v[54:55], v[87:88], v[70:71], -v[72:73]
	v_fma_f64 v[56:57], v[58:59], v[79:80], -v[81:82]
	ds_load_b64 v[72:73], v135
	ds_load_2addr_b64 v[2:5], v134 offset0:66 offset1:132
	ds_load_2addr_b64 v[12:15], v60 offset0:70 offset1:136
	global_wb scope:SCOPE_SE
	s_wait_dscnt 0x0
	s_barrier_signal -1
	s_barrier_wait -1
	global_inv scope:SCOPE_SE
	v_add_f64_e32 v[58:59], v[111:112], v[6:7]
	v_add_f64_e32 v[79:80], v[107:108], v[111:112]
	v_add_f64_e32 v[62:63], v[113:114], v[16:17]
	v_add_f64_e32 v[93:94], v[8:9], v[113:114]
	v_add_f64_e32 v[64:65], v[115:116], v[18:19]
	v_add_f64_e32 v[101:102], v[10:11], v[115:116]
	v_add_f64_e32 v[66:67], v[24:25], v[28:29]
	v_add_f64_e32 v[122:123], v[20:21], v[24:25]
	v_add_f64_e32 v[68:69], v[26:27], v[30:31]
	v_add_f64_e32 v[126:127], v[22:23], v[26:27]
	v_add_f64_e32 v[70:71], v[117:118], v[109:110]
	v_add_f64_e32 v[130:131], v[0:1], v[117:118]
	v_add_f64_e32 v[87:88], v[85:86], v[89:90]
	v_add_f64_e64 v[81:82], v[85:86], -v[89:90]
	v_add_f64_e32 v[99:100], v[91:92], v[95:96]
	v_add_f64_e64 v[97:98], v[91:92], -v[95:96]
	v_add_f64_e32 v[105:106], v[46:47], v[38:39]
	;; [unrolled: 2-line block ×3, first 2 shown]
	v_add_f64_e32 v[46:47], v[4:5], v[46:47]
	v_add_f64_e32 v[128:129], v[50:51], v[52:53]
	v_add_f64_e64 v[24:25], v[24:25], -v[28:29]
	v_add_f64_e32 v[132:133], v[54:55], v[56:57]
	v_add_f64_e64 v[26:27], v[26:27], -v[30:31]
	v_fma_f64 v[58:59], v[58:59], -0.5, v[107:108]
	v_add_f64_e64 v[107:108], v[40:41], -v[48:49]
	v_fma_f64 v[8:9], v[62:63], -0.5, v[8:9]
	v_add_f64_e64 v[62:63], v[50:51], -v[52:53]
	v_fma_f64 v[10:11], v[64:65], -0.5, v[10:11]
	v_add_f64_e64 v[64:65], v[54:55], -v[56:57]
	v_fma_f64 v[20:21], v[66:67], -0.5, v[20:21]
	v_lshlrev_b32_e32 v66, 3, v149
	v_fma_f64 v[22:23], v[68:69], -0.5, v[22:23]
	v_lshlrev_b32_e32 v67, 3, v150
	v_fma_f64 v[0:1], v[70:71], -0.5, v[0:1]
	v_add_f64_e64 v[68:69], v[111:112], -v[6:7]
	v_add3_u32 v137, 0, v66, v136
	v_add_f64_e32 v[50:51], v[14:15], v[50:51]
	v_add3_u32 v136, 0, v67, v136
	v_add_f64_e32 v[66:67], v[72:73], v[85:86]
	v_add_f64_e32 v[54:55], v[83:84], v[54:55]
	v_fma_f64 v[72:73], v[87:88], -0.5, v[72:73]
	v_add_f64_e32 v[70:71], v[2:3], v[91:92]
	v_add_f64_e64 v[85:86], v[113:114], -v[16:17]
	v_fma_f64 v[2:3], v[99:100], -0.5, v[2:3]
	v_add_f64_e64 v[91:92], v[115:116], -v[18:19]
	v_fma_f64 v[4:5], v[105:106], -0.5, v[4:5]
	v_add_f64_e32 v[40:41], v[12:13], v[40:41]
	v_fma_f64 v[12:13], v[124:125], -0.5, v[12:13]
	v_fma_f64 v[14:15], v[128:129], -0.5, v[14:15]
	v_add_f64_e64 v[111:112], v[117:118], -v[109:110]
	v_fma_f64 v[83:84], v[132:133], -0.5, v[83:84]
	v_add_f64_e32 v[6:7], v[79:80], v[6:7]
	v_add_f64_e32 v[16:17], v[93:94], v[16:17]
	;; [unrolled: 1-line block ×7, first 2 shown]
	v_add_nc_u32_e32 v105, 0x1800, v137
	v_add_nc_u32_e32 v106, 0x1800, v136
	v_fma_f64 v[87:88], v[81:82], s[0:1], v[58:59]
	s_wait_alu 0xfffe
	v_fma_f64 v[58:59], v[81:82], s[2:3], v[58:59]
	v_fma_f64 v[81:82], v[97:98], s[0:1], v[8:9]
	;; [unrolled: 1-line block ×11, first 2 shown]
	ds_store_2addr_b64 v134, v[6:7], v[16:17] offset1:66
	ds_store_2addr_b64 v60, v[87:88], v[58:59] offset0:4 offset1:136
	ds_store_2addr_b64 v60, v[81:82], v[8:9] offset0:70 offset1:202
	;; [unrolled: 1-line block ×5, first 2 shown]
	ds_store_b64 v134, v[10:11] offset:5280
	ds_store_b64 v134, v[20:21] offset:5808
	;; [unrolled: 1-line block ×3, first 2 shown]
	ds_store_2addr_b64 v106, v[79:80], v[62:63] offset0:24 offset1:156
	ds_store_b64 v136, v[0:1] offset:8448
	v_add_f64_e32 v[50:51], v[50:51], v[52:53]
	v_add_f64_e32 v[52:53], v[54:55], v[56:57]
	v_fma_f64 v[54:55], v[68:69], s[2:3], v[72:73]
	v_fma_f64 v[56:57], v[68:69], s[0:1], v[72:73]
	v_add_f64_e32 v[64:65], v[66:67], v[89:90]
	v_add_f64_e32 v[66:67], v[70:71], v[95:96]
	v_fma_f64 v[68:69], v[85:86], s[2:3], v[2:3]
	v_fma_f64 v[70:71], v[85:86], s[0:1], v[2:3]
	;; [unrolled: 1-line block ×3, first 2 shown]
	v_add_f64_e32 v[48:49], v[40:41], v[48:49]
	v_fma_f64 v[89:90], v[24:25], s[2:3], v[12:13]
	v_fma_f64 v[95:96], v[26:27], s[2:3], v[14:15]
	;; [unrolled: 1-line block ×7, first 2 shown]
	global_wb scope:SCOPE_SE
	s_wait_dscnt 0x0
	s_barrier_signal -1
	s_barrier_wait -1
	global_inv scope:SCOPE_SE
	ds_load_2addr_b64 v[0:3], v78 offset0:74 offset1:140
	ds_load_2addr_b64 v[12:15], v75 offset0:86 offset1:152
	;; [unrolled: 1-line block ×8, first 2 shown]
	ds_load_b64 v[38:39], v135
	ds_load_b64 v[40:41], v134 offset:8976
	global_wb scope:SCOPE_SE
	s_wait_dscnt 0x0
	s_barrier_signal -1
	s_barrier_wait -1
	global_inv scope:SCOPE_SE
	ds_store_2addr_b64 v60, v[54:55], v[56:57] offset0:4 offset1:136
	ds_store_2addr_b64 v134, v[64:65], v[66:67] offset1:66
	ds_store_2addr_b64 v60, v[68:69], v[70:71] offset0:70 offset1:202
	ds_store_2addr_b64 v61, v[46:47], v[72:73] offset0:12 offset1:144
	;; [unrolled: 1-line block ×4, first 2 shown]
	ds_store_b64 v134, v[85:86] offset:5280
	ds_store_b64 v134, v[91:92] offset:5808
	;; [unrolled: 1-line block ×3, first 2 shown]
	ds_store_2addr_b64 v106, v[52:53], v[103:104] offset0:24 offset1:156
	ds_store_b64 v136, v[83:84] offset:8448
	global_wb scope:SCOPE_SE
	s_wait_dscnt 0x0
	s_barrier_signal -1
	s_barrier_wait -1
	global_inv scope:SCOPE_SE
	s_and_saveexec_b32 s6, vcc_lo
	s_cbranch_execz .LBB0_20
; %bb.19:
	v_lshlrev_b32_e32 v118, 1, v42
	v_add_nc_u32_e32 v90, 0xc00, v134
	v_add_nc_u32_e32 v94, 0x1800, v134
	;; [unrolled: 1-line block ×4, first 2 shown]
	v_lshlrev_b64_e32 v[46:47], 4, v[118:119]
	v_lshlrev_b32_e32 v118, 1, v43
	v_add_nc_u32_e32 v106, 0x1000, v134
	v_add_nc_u32_e32 v110, 0x1c00, v134
	s_delay_alu instid0(VALU_DEP_3) | instskip(SKIP_4) | instid1(VALU_DEP_3)
	v_lshlrev_b64_e32 v[48:49], 4, v[118:119]
	v_lshlrev_b32_e32 v118, 1, v44
	v_add_co_u32 v58, vcc_lo, s4, v46
	s_wait_alu 0xfffd
	v_add_co_ci_u32_e32 v59, vcc_lo, s5, v47, vcc_lo
	v_lshlrev_b64_e32 v[70:71], 4, v[118:119]
	v_lshlrev_b32_e32 v118, 1, v45
	v_add_co_u32 v72, vcc_lo, s4, v48
	s_wait_alu 0xfffd
	v_add_co_ci_u32_e32 v73, vcc_lo, s5, v49, vcc_lo
	s_delay_alu instid0(VALU_DEP_3)
	v_lshlrev_b64_e32 v[74:75], 4, v[118:119]
	v_add_co_u32 v78, vcc_lo, s4, v70
	s_clause 0x6
	global_load_b128 v[46:49], v[34:35], off offset:6256
	global_load_b128 v[50:53], v[34:35], off offset:6240
	;; [unrolled: 1-line block ×7, first 2 shown]
	s_wait_alu 0xfffd
	v_add_co_ci_u32_e32 v79, vcc_lo, s5, v71, vcc_lo
	v_add_co_u32 v86, vcc_lo, s4, v74
	s_wait_alu 0xfffd
	v_add_co_ci_u32_e32 v87, vcc_lo, s5, v75, vcc_lo
	s_clause 0x4
	global_load_b128 v[70:73], v[72:73], off offset:6256
	global_load_b128 v[74:77], v[78:79], off offset:6240
	;; [unrolled: 1-line block ×5, first 2 shown]
	ds_load_2addr_b64 v[90:93], v90 offset0:78 offset1:144
	ds_load_2addr_b64 v[94:97], v94 offset0:90 offset1:156
	ds_load_2addr_b64 v[98:101], v98 offset0:74 offset1:140
	ds_load_2addr_b64 v[102:105], v102 offset0:86 offset1:152
	ds_load_2addr_b64 v[106:109], v106 offset0:82 offset1:148
	ds_load_2addr_b64 v[110:113], v110 offset0:94 offset1:160
	ds_load_b64 v[126:127], v134 offset:8976
	ds_load_b64 v[146:147], v135
	v_mul_hi_u32 v135, 0xa57eb503, v42
	s_wait_loadcnt 0xb
	v_mul_f64_e32 v[116:117], v[24:25], v[48:49]
	s_wait_dscnt 0x6
	v_mul_f64_e32 v[48:49], v[94:95], v[48:49]
	s_wait_loadcnt 0xa
	v_mul_f64_e32 v[114:115], v[16:17], v[52:53]
	s_wait_loadcnt 0x6
	;; [unrolled: 2-line block ×3, first 2 shown]
	v_mul_f64_e32 v[122:123], v[2:3], v[34:35]
	s_wait_dscnt 0x5
	v_mul_f64_e32 v[34:35], v[100:101], v[34:35]
	s_wait_dscnt 0x4
	v_mul_f64_e32 v[68:69], v[104:105], v[68:69]
	v_mul_f64_e32 v[52:53], v[90:91], v[52:53]
	v_mul_f64_e32 v[128:129], v[12:13], v[60:61]
	v_mul_f64_e32 v[130:131], v[40:41], v[56:57]
	v_mul_f64_e32 v[132:133], v[22:23], v[64:65]
	s_wait_loadcnt 0x4
	v_mul_f64_e32 v[136:137], v[30:31], v[72:73]
	s_wait_loadcnt 0x3
	v_mul_f64_e32 v[138:139], v[20:21], v[76:77]
	s_wait_loadcnt 0x2
	v_mul_f64_e32 v[140:141], v[28:29], v[80:81]
	s_wait_dscnt 0x3
	v_mul_f64_e32 v[76:77], v[106:107], v[76:77]
	s_wait_loadcnt 0x1
	v_mul_f64_e32 v[142:143], v[18:19], v[84:85]
	s_wait_loadcnt 0x0
	v_mul_f64_e32 v[144:145], v[26:27], v[88:89]
	v_mul_f64_e32 v[84:85], v[92:93], v[84:85]
	;; [unrolled: 1-line block ×3, first 2 shown]
	s_wait_dscnt 0x2
	v_mul_f64_e32 v[80:81], v[110:111], v[80:81]
	v_mul_f64_e32 v[64:65], v[108:109], v[64:65]
	;; [unrolled: 1-line block ×4, first 2 shown]
	s_wait_dscnt 0x1
	v_mul_f64_e32 v[56:57], v[126:127], v[56:57]
	v_fma_f64 v[94:95], v[94:95], v[46:47], -v[116:117]
	v_fma_f64 v[24:25], v[24:25], v[46:47], v[48:49]
	v_fma_f64 v[90:91], v[90:91], v[50:51], -v[114:115]
	v_fma_f64 v[48:49], v[104:105], v[66:67], -v[124:125]
	v_fma_f64 v[46:47], v[100:101], v[32:33], -v[122:123]
	v_fma_f64 v[2:3], v[2:3], v[32:33], v[34:35]
	v_fma_f64 v[32:33], v[14:15], v[66:67], v[68:69]
	;; [unrolled: 1-line block ×3, first 2 shown]
	v_fma_f64 v[34:35], v[102:103], v[58:59], -v[128:129]
	v_fma_f64 v[52:53], v[126:127], v[54:55], -v[130:131]
	;; [unrolled: 1-line block ×6, first 2 shown]
	v_fma_f64 v[20:21], v[20:21], v[74:75], v[76:77]
	v_fma_f64 v[74:75], v[92:93], v[82:83], -v[142:143]
	v_fma_f64 v[76:77], v[96:97], v[86:87], -v[144:145]
	v_fma_f64 v[82:83], v[18:19], v[82:83], v[84:85]
	v_fma_f64 v[26:27], v[26:27], v[86:87], v[88:89]
	;; [unrolled: 1-line block ×7, first 2 shown]
	v_mul_hi_u32 v72, 0xa57eb503, v45
	v_add_nc_u32_e32 v16, 0x400, v134
	ds_load_2addr_b64 v[12:15], v134 offset0:66 offset1:132
	v_mul_hi_u32 v134, 0xa57eb503, v43
	v_mul_hi_u32 v130, 0xa57eb503, v44
	v_add_co_u32 v80, vcc_lo, s8, v120
	s_wait_alu 0xfffd
	v_add_co_ci_u32_e32 v81, vcc_lo, s9, v121, vcc_lo
	v_lshrrev_b32_e32 v84, 8, v72
	s_delay_alu instid0(VALU_DEP_3) | instskip(SKIP_1) | instid1(VALU_DEP_3)
	v_add_co_u32 v80, vcc_lo, v80, v36
	s_wait_alu 0xfffd
	v_add_co_ci_u32_e32 v81, vcc_lo, v81, v37, vcc_lo
	ds_load_2addr_b64 v[16:19], v16 offset0:70 offset1:136
	v_mul_u32_u24_e32 v118, 0x318, v84
	v_add_f64_e32 v[54:55], v[90:91], v[94:95]
	v_lshrrev_b32_e32 v136, 8, v134
	v_add_f64_e32 v[56:57], v[46:47], v[48:49]
	s_wait_dscnt 0x2
	v_add_f64_e32 v[96:97], v[146:147], v[46:47]
	v_add_f64_e32 v[42:43], v[2:3], v[32:33]
	;; [unrolled: 1-line block ×5, first 2 shown]
	v_add_f64_e64 v[84:85], v[50:51], -v[24:25]
	v_add_f64_e32 v[62:63], v[66:67], v[68:69]
	s_wait_dscnt 0x1
	v_add_f64_e32 v[88:89], v[12:13], v[90:91]
	v_add_f64_e32 v[64:65], v[100:101], v[102:103]
	;; [unrolled: 1-line block ×3, first 2 shown]
	v_add_f64_e64 v[92:93], v[2:3], -v[32:33]
	v_add_f64_e32 v[70:71], v[74:75], v[76:77]
	v_add_f64_e64 v[46:47], v[46:47], -v[48:49]
	v_add_f64_e32 v[72:73], v[82:83], v[26:27]
	v_add_f64_e32 v[78:79], v[20:21], v[28:29]
	v_add_f64_e64 v[90:91], v[90:91], -v[94:95]
	v_add_f64_e32 v[36:37], v[22:23], v[30:31]
	v_add_f64_e32 v[112:113], v[6:7], v[22:23]
	;; [unrolled: 1-line block ×8, first 2 shown]
	v_add_f64_e64 v[124:125], v[58:59], -v[40:41]
	v_add_f64_e64 v[58:59], v[82:83], -v[26:27]
	s_wait_dscnt 0x0
	v_add_f64_e32 v[114:115], v[16:17], v[100:101]
	v_add_f64_e64 v[128:129], v[20:21], -v[28:29]
	v_add_f64_e32 v[110:111], v[18:19], v[66:67]
	v_add_f64_e64 v[126:127], v[22:23], -v[30:31]
	v_lshrrev_b32_e32 v2, 8, v130
	v_add_f64_e64 v[132:133], v[34:35], -v[52:53]
	v_lshrrev_b32_e32 v137, 8, v135
	v_fma_f64 v[54:55], v[54:55], -0.5, v[12:13]
	v_fma_f64 v[56:57], v[56:57], -0.5, v[146:147]
	;; [unrolled: 1-line block ×7, first 2 shown]
	v_add_f64_e64 v[64:65], v[74:75], -v[76:77]
	v_fma_f64 v[62:63], v[70:71], -0.5, v[14:15]
	v_fma_f64 v[70:71], v[72:73], -0.5, v[10:11]
	v_add_f64_e64 v[72:73], v[100:101], -v[102:103]
	v_fma_f64 v[74:75], v[78:79], -0.5, v[4:5]
	v_add_f64_e64 v[100:101], v[66:67], -v[68:69]
	v_fma_f64 v[130:131], v[36:37], -0.5, v[6:7]
	v_fma_f64 v[86:87], v[86:87], -0.5, v[0:1]
	v_add_f64_e32 v[6:7], v[96:97], v[48:49]
	v_add_f64_e32 v[4:5], v[104:105], v[32:33]
	v_lshlrev_b64_e32 v[78:79], 4, v[118:119]
	v_mul_u32_u24_e32 v118, 0x318, v2
	v_add_f64_e32 v[2:3], v[88:89], v[94:95]
	v_add_f64_e32 v[0:1], v[50:51], v[24:25]
	;; [unrolled: 1-line block ×10, first 2 shown]
	v_lshlrev_b64_e32 v[134:135], 4, v[118:119]
	v_mul_u32_u24_e32 v118, 0x318, v136
	v_fma_f64 v[30:31], v[84:85], s[2:3], v[54:55]
	v_fma_f64 v[26:27], v[84:85], s[0:1], v[54:55]
	;; [unrolled: 1-line block ×24, first 2 shown]
	v_lshlrev_b64_e32 v[74:75], 4, v[118:119]
	v_mul_u32_u24_e32 v118, 0x318, v137
	v_add_co_u32 v72, vcc_lo, v80, v78
	s_wait_alu 0xfffd
	v_add_co_ci_u32_e32 v73, vcc_lo, v81, v79, vcc_lo
	v_add_co_u32 v76, vcc_lo, v80, v134
	v_lshlrev_b64_e32 v[78:79], 4, v[118:119]
	s_wait_alu 0xfffd
	v_add_co_ci_u32_e32 v77, vcc_lo, v81, v135, vcc_lo
	v_add_co_u32 v74, vcc_lo, v80, v74
	s_wait_alu 0xfffd
	v_add_co_ci_u32_e32 v75, vcc_lo, v81, v75, vcc_lo
	v_add_co_u32 v78, vcc_lo, v80, v78
	s_wait_alu 0xfffd
	v_add_co_ci_u32_e32 v79, vcc_lo, v81, v79, vcc_lo
	s_clause 0x11
	global_store_b128 v[80:81], v[4:7], off
	global_store_b128 v[80:81], v[0:3], off offset:1056
	global_store_b128 v[80:81], v[36:39], off offset:6336
	;; [unrolled: 1-line block ×17, first 2 shown]
.LBB0_20:
	s_nop 0
	s_sendmsg sendmsg(MSG_DEALLOC_VGPRS)
	s_endpgm
	.section	.rodata,"a",@progbits
	.p2align	6, 0x0
	.amdhsa_kernel fft_rtc_back_len1188_factors_6_11_2_3_3_wgs_198_tpt_66_halfLds_dp_ip_CI_unitstride_sbrr_dirReg
		.amdhsa_group_segment_fixed_size 0
		.amdhsa_private_segment_fixed_size 0
		.amdhsa_kernarg_size 88
		.amdhsa_user_sgpr_count 2
		.amdhsa_user_sgpr_dispatch_ptr 0
		.amdhsa_user_sgpr_queue_ptr 0
		.amdhsa_user_sgpr_kernarg_segment_ptr 1
		.amdhsa_user_sgpr_dispatch_id 0
		.amdhsa_user_sgpr_private_segment_size 0
		.amdhsa_wavefront_size32 1
		.amdhsa_uses_dynamic_stack 0
		.amdhsa_enable_private_segment 0
		.amdhsa_system_sgpr_workgroup_id_x 1
		.amdhsa_system_sgpr_workgroup_id_y 0
		.amdhsa_system_sgpr_workgroup_id_z 0
		.amdhsa_system_sgpr_workgroup_info 0
		.amdhsa_system_vgpr_workitem_id 0
		.amdhsa_next_free_vgpr 192
		.amdhsa_next_free_sgpr 38
		.amdhsa_reserve_vcc 1
		.amdhsa_float_round_mode_32 0
		.amdhsa_float_round_mode_16_64 0
		.amdhsa_float_denorm_mode_32 3
		.amdhsa_float_denorm_mode_16_64 3
		.amdhsa_fp16_overflow 0
		.amdhsa_workgroup_processor_mode 1
		.amdhsa_memory_ordered 1
		.amdhsa_forward_progress 0
		.amdhsa_round_robin_scheduling 0
		.amdhsa_exception_fp_ieee_invalid_op 0
		.amdhsa_exception_fp_denorm_src 0
		.amdhsa_exception_fp_ieee_div_zero 0
		.amdhsa_exception_fp_ieee_overflow 0
		.amdhsa_exception_fp_ieee_underflow 0
		.amdhsa_exception_fp_ieee_inexact 0
		.amdhsa_exception_int_div_zero 0
	.end_amdhsa_kernel
	.text
.Lfunc_end0:
	.size	fft_rtc_back_len1188_factors_6_11_2_3_3_wgs_198_tpt_66_halfLds_dp_ip_CI_unitstride_sbrr_dirReg, .Lfunc_end0-fft_rtc_back_len1188_factors_6_11_2_3_3_wgs_198_tpt_66_halfLds_dp_ip_CI_unitstride_sbrr_dirReg
                                        ; -- End function
	.section	.AMDGPU.csdata,"",@progbits
; Kernel info:
; codeLenInByte = 13552
; NumSgprs: 40
; NumVgprs: 192
; ScratchSize: 0
; MemoryBound: 1
; FloatMode: 240
; IeeeMode: 1
; LDSByteSize: 0 bytes/workgroup (compile time only)
; SGPRBlocks: 4
; VGPRBlocks: 23
; NumSGPRsForWavesPerEU: 40
; NumVGPRsForWavesPerEU: 192
; Occupancy: 8
; WaveLimiterHint : 1
; COMPUTE_PGM_RSRC2:SCRATCH_EN: 0
; COMPUTE_PGM_RSRC2:USER_SGPR: 2
; COMPUTE_PGM_RSRC2:TRAP_HANDLER: 0
; COMPUTE_PGM_RSRC2:TGID_X_EN: 1
; COMPUTE_PGM_RSRC2:TGID_Y_EN: 0
; COMPUTE_PGM_RSRC2:TGID_Z_EN: 0
; COMPUTE_PGM_RSRC2:TIDIG_COMP_CNT: 0
	.text
	.p2alignl 7, 3214868480
	.fill 96, 4, 3214868480
	.type	__hip_cuid_80007cfde4b9d2dd,@object ; @__hip_cuid_80007cfde4b9d2dd
	.section	.bss,"aw",@nobits
	.globl	__hip_cuid_80007cfde4b9d2dd
__hip_cuid_80007cfde4b9d2dd:
	.byte	0                               ; 0x0
	.size	__hip_cuid_80007cfde4b9d2dd, 1

	.ident	"AMD clang version 19.0.0git (https://github.com/RadeonOpenCompute/llvm-project roc-6.4.0 25133 c7fe45cf4b819c5991fe208aaa96edf142730f1d)"
	.section	".note.GNU-stack","",@progbits
	.addrsig
	.addrsig_sym __hip_cuid_80007cfde4b9d2dd
	.amdgpu_metadata
---
amdhsa.kernels:
  - .args:
      - .actual_access:  read_only
        .address_space:  global
        .offset:         0
        .size:           8
        .value_kind:     global_buffer
      - .offset:         8
        .size:           8
        .value_kind:     by_value
      - .actual_access:  read_only
        .address_space:  global
        .offset:         16
        .size:           8
        .value_kind:     global_buffer
      - .actual_access:  read_only
        .address_space:  global
        .offset:         24
        .size:           8
        .value_kind:     global_buffer
      - .offset:         32
        .size:           8
        .value_kind:     by_value
      - .actual_access:  read_only
        .address_space:  global
        .offset:         40
        .size:           8
        .value_kind:     global_buffer
      - .actual_access:  read_only
        .address_space:  global
        .offset:         48
        .size:           8
        .value_kind:     global_buffer
      - .offset:         56
        .size:           4
        .value_kind:     by_value
      - .actual_access:  read_only
        .address_space:  global
        .offset:         64
        .size:           8
        .value_kind:     global_buffer
      - .actual_access:  read_only
        .address_space:  global
        .offset:         72
        .size:           8
        .value_kind:     global_buffer
      - .address_space:  global
        .offset:         80
        .size:           8
        .value_kind:     global_buffer
    .group_segment_fixed_size: 0
    .kernarg_segment_align: 8
    .kernarg_segment_size: 88
    .language:       OpenCL C
    .language_version:
      - 2
      - 0
    .max_flat_workgroup_size: 198
    .name:           fft_rtc_back_len1188_factors_6_11_2_3_3_wgs_198_tpt_66_halfLds_dp_ip_CI_unitstride_sbrr_dirReg
    .private_segment_fixed_size: 0
    .sgpr_count:     40
    .sgpr_spill_count: 0
    .symbol:         fft_rtc_back_len1188_factors_6_11_2_3_3_wgs_198_tpt_66_halfLds_dp_ip_CI_unitstride_sbrr_dirReg.kd
    .uniform_work_group_size: 1
    .uses_dynamic_stack: false
    .vgpr_count:     192
    .vgpr_spill_count: 0
    .wavefront_size: 32
    .workgroup_processor_mode: 1
amdhsa.target:   amdgcn-amd-amdhsa--gfx1201
amdhsa.version:
  - 1
  - 2
...

	.end_amdgpu_metadata
